;; amdgpu-corpus repo=ROCm/rocFFT kind=compiled arch=gfx906 opt=O3
	.text
	.amdgcn_target "amdgcn-amd-amdhsa--gfx906"
	.amdhsa_code_object_version 6
	.protected	fft_rtc_fwd_len1872_factors_13_3_4_6_2_wgs_156_tpt_156_halfLds_half_op_CI_CI_unitstride_sbrr_R2C_dirReg ; -- Begin function fft_rtc_fwd_len1872_factors_13_3_4_6_2_wgs_156_tpt_156_halfLds_half_op_CI_CI_unitstride_sbrr_R2C_dirReg
	.globl	fft_rtc_fwd_len1872_factors_13_3_4_6_2_wgs_156_tpt_156_halfLds_half_op_CI_CI_unitstride_sbrr_R2C_dirReg
	.p2align	8
	.type	fft_rtc_fwd_len1872_factors_13_3_4_6_2_wgs_156_tpt_156_halfLds_half_op_CI_CI_unitstride_sbrr_R2C_dirReg,@function
fft_rtc_fwd_len1872_factors_13_3_4_6_2_wgs_156_tpt_156_halfLds_half_op_CI_CI_unitstride_sbrr_R2C_dirReg: ; @fft_rtc_fwd_len1872_factors_13_3_4_6_2_wgs_156_tpt_156_halfLds_half_op_CI_CI_unitstride_sbrr_R2C_dirReg
; %bb.0:
	s_load_dwordx4 s[8:11], s[4:5], 0x58
	s_load_dwordx4 s[12:15], s[4:5], 0x0
	;; [unrolled: 1-line block ×3, first 2 shown]
	v_mul_u32_u24_e32 v1, 0x1a5, v0
	v_mov_b32_e32 v3, 0
	v_mov_b32_e32 v7, 0
	s_waitcnt lgkmcnt(0)
	v_cmp_lt_u64_e64 s[0:1], s[14:15], 2
	v_add_u32_sdwa v9, s6, v1 dst_sel:DWORD dst_unused:UNUSED_PAD src0_sel:DWORD src1_sel:WORD_1
	v_mov_b32_e32 v10, v3
	s_and_b64 vcc, exec, s[0:1]
	v_mov_b32_e32 v8, 0
	s_cbranch_vccnz .LBB0_8
; %bb.1:
	s_load_dwordx2 s[0:1], s[4:5], 0x10
	s_add_u32 s2, s18, 8
	s_addc_u32 s3, s19, 0
	s_add_u32 s6, s16, 8
	s_addc_u32 s7, s17, 0
	v_mov_b32_e32 v7, 0
	s_waitcnt lgkmcnt(0)
	s_add_u32 s20, s0, 8
	v_mov_b32_e32 v8, 0
	v_mov_b32_e32 v1, v7
	s_addc_u32 s21, s1, 0
	s_mov_b64 s[22:23], 1
	v_mov_b32_e32 v2, v8
.LBB0_2:                                ; =>This Inner Loop Header: Depth=1
	s_load_dwordx2 s[24:25], s[20:21], 0x0
                                        ; implicit-def: $vgpr5_vgpr6
	s_waitcnt lgkmcnt(0)
	v_or_b32_e32 v4, s25, v10
	v_cmp_ne_u64_e32 vcc, 0, v[3:4]
	s_and_saveexec_b64 s[0:1], vcc
	s_xor_b64 s[26:27], exec, s[0:1]
	s_cbranch_execz .LBB0_4
; %bb.3:                                ;   in Loop: Header=BB0_2 Depth=1
	v_cvt_f32_u32_e32 v4, s24
	v_cvt_f32_u32_e32 v5, s25
	s_sub_u32 s0, 0, s24
	s_subb_u32 s1, 0, s25
	v_mac_f32_e32 v4, 0x4f800000, v5
	v_rcp_f32_e32 v4, v4
	v_mul_f32_e32 v4, 0x5f7ffffc, v4
	v_mul_f32_e32 v5, 0x2f800000, v4
	v_trunc_f32_e32 v5, v5
	v_mac_f32_e32 v4, 0xcf800000, v5
	v_cvt_u32_f32_e32 v5, v5
	v_cvt_u32_f32_e32 v4, v4
	v_mul_lo_u32 v6, s0, v5
	v_mul_hi_u32 v11, s0, v4
	v_mul_lo_u32 v13, s1, v4
	v_mul_lo_u32 v12, s0, v4
	v_add_u32_e32 v6, v11, v6
	v_add_u32_e32 v6, v6, v13
	v_mul_hi_u32 v11, v4, v12
	v_mul_lo_u32 v13, v4, v6
	v_mul_hi_u32 v15, v4, v6
	v_mul_hi_u32 v14, v5, v12
	v_mul_lo_u32 v12, v5, v12
	v_mul_hi_u32 v16, v5, v6
	v_add_co_u32_e32 v11, vcc, v11, v13
	v_addc_co_u32_e32 v13, vcc, 0, v15, vcc
	v_mul_lo_u32 v6, v5, v6
	v_add_co_u32_e32 v11, vcc, v11, v12
	v_addc_co_u32_e32 v11, vcc, v13, v14, vcc
	v_addc_co_u32_e32 v12, vcc, 0, v16, vcc
	v_add_co_u32_e32 v6, vcc, v11, v6
	v_addc_co_u32_e32 v11, vcc, 0, v12, vcc
	v_add_co_u32_e32 v4, vcc, v4, v6
	v_addc_co_u32_e32 v5, vcc, v5, v11, vcc
	v_mul_lo_u32 v6, s0, v5
	v_mul_hi_u32 v11, s0, v4
	v_mul_lo_u32 v12, s1, v4
	v_mul_lo_u32 v13, s0, v4
	v_add_u32_e32 v6, v11, v6
	v_add_u32_e32 v6, v6, v12
	v_mul_lo_u32 v14, v4, v6
	v_mul_hi_u32 v15, v4, v13
	v_mul_hi_u32 v16, v4, v6
	v_mul_hi_u32 v12, v5, v13
	v_mul_lo_u32 v13, v5, v13
	v_mul_hi_u32 v11, v5, v6
	v_add_co_u32_e32 v14, vcc, v15, v14
	v_addc_co_u32_e32 v15, vcc, 0, v16, vcc
	v_mul_lo_u32 v6, v5, v6
	v_add_co_u32_e32 v13, vcc, v14, v13
	v_addc_co_u32_e32 v12, vcc, v15, v12, vcc
	v_addc_co_u32_e32 v11, vcc, 0, v11, vcc
	v_add_co_u32_e32 v6, vcc, v12, v6
	v_addc_co_u32_e32 v11, vcc, 0, v11, vcc
	v_add_co_u32_e32 v6, vcc, v4, v6
	v_addc_co_u32_e32 v11, vcc, v5, v11, vcc
	v_mad_u64_u32 v[4:5], s[0:1], v9, v11, 0
	v_mul_hi_u32 v12, v9, v6
	v_add_co_u32_e32 v13, vcc, v12, v4
	v_addc_co_u32_e32 v14, vcc, 0, v5, vcc
	v_mad_u64_u32 v[4:5], s[0:1], v10, v6, 0
	v_mad_u64_u32 v[11:12], s[0:1], v10, v11, 0
	v_add_co_u32_e32 v4, vcc, v13, v4
	v_addc_co_u32_e32 v4, vcc, v14, v5, vcc
	v_addc_co_u32_e32 v5, vcc, 0, v12, vcc
	v_add_co_u32_e32 v11, vcc, v4, v11
	v_addc_co_u32_e32 v6, vcc, 0, v5, vcc
	v_mul_lo_u32 v12, s25, v11
	v_mul_lo_u32 v13, s24, v6
	v_mad_u64_u32 v[4:5], s[0:1], s24, v11, 0
	v_add3_u32 v5, v5, v13, v12
	v_sub_u32_e32 v12, v10, v5
	v_mov_b32_e32 v13, s25
	v_sub_co_u32_e32 v4, vcc, v9, v4
	v_subb_co_u32_e64 v12, s[0:1], v12, v13, vcc
	v_subrev_co_u32_e64 v13, s[0:1], s24, v4
	v_subbrev_co_u32_e64 v12, s[0:1], 0, v12, s[0:1]
	v_cmp_le_u32_e64 s[0:1], s25, v12
	v_cndmask_b32_e64 v14, 0, -1, s[0:1]
	v_cmp_le_u32_e64 s[0:1], s24, v13
	v_cndmask_b32_e64 v13, 0, -1, s[0:1]
	v_cmp_eq_u32_e64 s[0:1], s25, v12
	v_cndmask_b32_e64 v12, v14, v13, s[0:1]
	v_add_co_u32_e64 v13, s[0:1], 2, v11
	v_addc_co_u32_e64 v14, s[0:1], 0, v6, s[0:1]
	v_add_co_u32_e64 v15, s[0:1], 1, v11
	v_addc_co_u32_e64 v16, s[0:1], 0, v6, s[0:1]
	v_subb_co_u32_e32 v5, vcc, v10, v5, vcc
	v_cmp_ne_u32_e64 s[0:1], 0, v12
	v_cmp_le_u32_e32 vcc, s25, v5
	v_cndmask_b32_e64 v12, v16, v14, s[0:1]
	v_cndmask_b32_e64 v14, 0, -1, vcc
	v_cmp_le_u32_e32 vcc, s24, v4
	v_cndmask_b32_e64 v4, 0, -1, vcc
	v_cmp_eq_u32_e32 vcc, s25, v5
	v_cndmask_b32_e32 v4, v14, v4, vcc
	v_cmp_ne_u32_e32 vcc, 0, v4
	v_cndmask_b32_e64 v4, v15, v13, s[0:1]
	v_cndmask_b32_e32 v6, v6, v12, vcc
	v_cndmask_b32_e32 v5, v11, v4, vcc
.LBB0_4:                                ;   in Loop: Header=BB0_2 Depth=1
	s_andn2_saveexec_b64 s[0:1], s[26:27]
	s_cbranch_execz .LBB0_6
; %bb.5:                                ;   in Loop: Header=BB0_2 Depth=1
	v_cvt_f32_u32_e32 v4, s24
	s_sub_i32 s26, 0, s24
	v_rcp_iflag_f32_e32 v4, v4
	v_mul_f32_e32 v4, 0x4f7ffffe, v4
	v_cvt_u32_f32_e32 v4, v4
	v_mul_lo_u32 v5, s26, v4
	v_mul_hi_u32 v5, v4, v5
	v_add_u32_e32 v4, v4, v5
	v_mul_hi_u32 v4, v9, v4
	v_mul_lo_u32 v5, v4, s24
	v_add_u32_e32 v6, 1, v4
	v_sub_u32_e32 v5, v9, v5
	v_subrev_u32_e32 v11, s24, v5
	v_cmp_le_u32_e32 vcc, s24, v5
	v_cndmask_b32_e32 v5, v5, v11, vcc
	v_cndmask_b32_e32 v4, v4, v6, vcc
	v_add_u32_e32 v6, 1, v4
	v_cmp_le_u32_e32 vcc, s24, v5
	v_cndmask_b32_e32 v5, v4, v6, vcc
	v_mov_b32_e32 v6, v3
.LBB0_6:                                ;   in Loop: Header=BB0_2 Depth=1
	s_or_b64 exec, exec, s[0:1]
	v_mul_lo_u32 v4, v6, s24
	v_mul_lo_u32 v13, v5, s25
	v_mad_u64_u32 v[11:12], s[0:1], v5, s24, 0
	s_load_dwordx2 s[0:1], s[6:7], 0x0
	s_load_dwordx2 s[24:25], s[2:3], 0x0
	v_add3_u32 v4, v12, v13, v4
	v_sub_co_u32_e32 v9, vcc, v9, v11
	v_subb_co_u32_e32 v4, vcc, v10, v4, vcc
	s_waitcnt lgkmcnt(0)
	v_mul_lo_u32 v10, s0, v4
	v_mul_lo_u32 v11, s1, v9
	v_mad_u64_u32 v[7:8], s[0:1], s0, v9, v[7:8]
	s_add_u32 s22, s22, 1
	s_addc_u32 s23, s23, 0
	s_add_u32 s2, s2, 8
	v_mul_lo_u32 v4, s24, v4
	v_mul_lo_u32 v12, s25, v9
	v_mad_u64_u32 v[1:2], s[0:1], s24, v9, v[1:2]
	v_add3_u32 v8, v11, v8, v10
	s_addc_u32 s3, s3, 0
	v_mov_b32_e32 v9, s14
	s_add_u32 s6, s6, 8
	v_mov_b32_e32 v10, s15
	s_addc_u32 s7, s7, 0
	v_cmp_ge_u64_e32 vcc, s[22:23], v[9:10]
	s_add_u32 s20, s20, 8
	v_add3_u32 v2, v12, v2, v4
	s_addc_u32 s21, s21, 0
	s_cbranch_vccnz .LBB0_9
; %bb.7:                                ;   in Loop: Header=BB0_2 Depth=1
	v_mov_b32_e32 v10, v6
	v_mov_b32_e32 v9, v5
	s_branch .LBB0_2
.LBB0_8:
	v_mov_b32_e32 v1, v7
	v_mov_b32_e32 v5, v9
	;; [unrolled: 1-line block ×4, first 2 shown]
.LBB0_9:
	s_load_dwordx2 s[4:5], s[4:5], 0x28
	s_lshl_b64 s[6:7], s[14:15], 3
	s_add_u32 s2, s18, s6
	s_addc_u32 s3, s19, s7
                                        ; implicit-def: $vgpr3
	s_waitcnt lgkmcnt(0)
	v_cmp_gt_u64_e64 s[0:1], s[4:5], v[5:6]
	v_cmp_le_u64_e32 vcc, s[4:5], v[5:6]
	s_and_saveexec_b64 s[4:5], vcc
	s_xor_b64 s[4:5], exec, s[4:5]
; %bb.10:
	s_mov_b32 s14, 0x1a41a42
	v_mul_hi_u32 v3, v0, s14
                                        ; implicit-def: $vgpr7_vgpr8
	v_mul_u32_u24_e32 v3, 0x9c, v3
	v_sub_u32_e32 v3, v0, v3
                                        ; implicit-def: $vgpr0
; %bb.11:
	s_andn2_saveexec_b64 s[4:5], s[4:5]
	s_cbranch_execz .LBB0_13
; %bb.12:
	s_add_u32 s6, s16, s6
	s_addc_u32 s7, s17, s7
	s_load_dwordx2 s[6:7], s[6:7], 0x0
	s_mov_b32 s14, 0x1a41a42
	v_mul_hi_u32 v3, v0, s14
	v_lshlrev_b64 v[7:8], 2, v[7:8]
	s_waitcnt lgkmcnt(0)
	v_mul_lo_u32 v4, s7, v5
	v_mul_lo_u32 v11, s6, v6
	v_mad_u64_u32 v[9:10], s[6:7], s6, v5, 0
	v_mul_u32_u24_e32 v3, 0x9c, v3
	v_sub_u32_e32 v3, v0, v3
	v_add3_u32 v10, v10, v11, v4
	v_lshlrev_b64 v[9:10], 2, v[9:10]
	v_mov_b32_e32 v0, s9
	v_add_co_u32_e32 v4, vcc, s8, v9
	v_addc_co_u32_e32 v0, vcc, v0, v10, vcc
	v_add_co_u32_e32 v4, vcc, v4, v7
	v_addc_co_u32_e32 v0, vcc, v0, v8, vcc
	v_lshlrev_b32_e32 v11, 2, v3
	v_add_co_u32_e32 v7, vcc, v4, v11
	v_addc_co_u32_e32 v8, vcc, 0, v0, vcc
	v_add_co_u32_e32 v9, vcc, 0x1000, v7
	v_addc_co_u32_e32 v10, vcc, 0, v8, vcc
	global_load_dword v0, v[7:8], off
	global_load_dword v4, v[7:8], off offset:624
	global_load_dword v12, v[7:8], off offset:1248
	;; [unrolled: 1-line block ×11, first 2 shown]
	v_add_u32_e32 v7, 0, v11
	v_add_u32_e32 v8, 0x400, v7
	;; [unrolled: 1-line block ×6, first 2 shown]
	s_waitcnt vmcnt(10)
	ds_write2_b32 v7, v0, v4 offset1:156
	s_waitcnt vmcnt(8)
	ds_write2_b32 v8, v12, v13 offset0:56 offset1:212
	s_waitcnt vmcnt(6)
	ds_write2_b32 v9, v14, v15 offset0:48 offset1:204
	;; [unrolled: 2-line block ×5, first 2 shown]
.LBB0_13:
	s_or_b64 exec, exec, s[4:5]
	v_lshl_add_u32 v0, v3, 2, 0
	v_add_u32_e32 v4, 0x800, v0
	s_waitcnt lgkmcnt(0)
	s_barrier
	ds_read2_b32 v[11:12], v4 offset0:64 offset1:208
	v_add_u32_e32 v4, 0xc00, v0
	v_add_u32_e32 v19, 0x400, v0
	ds_read2_b32 v[9:10], v4 offset0:96 offset1:240
	v_add_u32_e32 v20, 0x1200, v0
	v_add_u32_e32 v4, 0x1600, v0
	ds_read2_b32 v[7:8], v0 offset1:144
	ds_read2_b32 v[15:16], v19 offset0:32 offset1:176
	ds_read2_b32 v[13:14], v20 offset1:144
	ds_read2_b32 v[17:18], v4 offset0:32 offset1:176
	ds_read_b32 v21, v0 offset:6912
	s_movk_i32 s4, 0x90
	v_cmp_gt_u32_e32 vcc, s4, v3
	s_waitcnt lgkmcnt(0)
	s_barrier
	s_and_saveexec_b64 s[4:5], vcc
	s_cbranch_execz .LBB0_15
; %bb.14:
	v_pk_add_f16 v4, v7, v8
	v_pk_add_f16 v4, v4, v15
	;; [unrolled: 1-line block ×11, first 2 shown]
	s_movk_i32 s6, 0x388b
	v_pk_add_f16 v22, v4, v18
	v_pk_add_f16 v4, v18, v15
	v_mul_f16_sdwa v24, v23, s6 dst_sel:DWORD dst_unused:UNUSED_PAD src0_sel:WORD_1 src1_sel:DWORD
	v_pk_add_f16 v8, v8, v21 neg_lo:[0,1] neg_hi:[0,1]
	s_mov_b32 s7, 0xb5ac
	s_mov_b32 s9, 0xba95
	v_pk_add_f16 v18, v15, v18 neg_lo:[0,1] neg_hi:[0,1]
	v_pk_add_f16 v15, v17, v16
	v_pk_add_f16 v17, v16, v17 neg_lo:[0,1] neg_hi:[0,1]
	v_pk_add_f16 v16, v14, v11
	;; [unrolled: 2-line block ×4, first 2 shown]
	v_pk_add_f16 v9, v9, v10 neg_lo:[0,1] neg_hi:[0,1]
	s_mov_b32 s8, 0xbb7b
	v_fma_f16 v10, v8, s9, v24
	v_mul_f16_sdwa v25, v4, s7 dst_sel:DWORD dst_unused:UNUSED_PAD src0_sel:WORD_1 src1_sel:DWORD
	v_add_f16_sdwa v10, v7, v10 dst_sel:DWORD dst_unused:UNUSED_PAD src0_sel:WORD_1 src1_sel:DWORD
	v_fma_f16 v26, v18, s8, v25
	s_mov_b32 s14, 0xbbc4
	v_add_f16_e32 v10, v26, v10
	s_mov_b32 s18, 0xb3a8
	v_mul_f16_sdwa v26, v15, s14 dst_sel:DWORD dst_unused:UNUSED_PAD src0_sel:WORD_1 src1_sel:DWORD
	v_fma_f16 v27, v17, s18, v26
	s_mov_b32 s15, 0xb9fd
	v_add_f16_e32 v10, v27, v10
	s_movk_i32 s27, 0x394e
	v_mul_f16_sdwa v27, v16, s15 dst_sel:DWORD dst_unused:UNUSED_PAD src0_sel:WORD_1 src1_sel:DWORD
	v_fma_f16 v28, v14, s27, v27
	s_movk_i32 s17, 0x2fb7
	v_add_f16_e32 v10, v28, v10
	s_movk_i32 s21, 0x3bf1
	v_mul_f16_sdwa v28, v11, s17 dst_sel:DWORD dst_unused:UNUSED_PAD src0_sel:WORD_1 src1_sel:DWORD
	v_fma_f16 v29, v13, s21, v28
	s_movk_i32 s19, 0x3b15
	v_add_f16_e32 v10, v29, v10
	s_movk_i32 s24, 0x3770
	v_mul_f16_sdwa v29, v12, s19 dst_sel:DWORD dst_unused:UNUSED_PAD src0_sel:WORD_1 src1_sel:DWORD
	v_fma_f16 v30, v9, s24, v29
	s_mov_b32 s20, 0x3b15388b
	v_add_f16_e32 v10, v30, v10
	s_mov_b32 s16, 0xba95b770
	s_mov_b32 s23, 0x388bb5ac
	v_pk_mul_f16 v30, v23, s20
	s_mov_b32 s22, 0xbb7bba95
	v_pk_fma_f16 v31, v8, s16, v30 op_sel:[0,0,1] op_sel_hi:[1,1,0]
	v_pk_fma_f16 v30, v8, s16, v30 op_sel:[0,0,1] op_sel_hi:[1,1,0] neg_lo:[1,0,0] neg_hi:[1,0,0]
	s_mov_b32 s16, 0xffff
	v_pk_mul_f16 v33, v4, s23
	v_bfi_b32 v32, s16, v31, v30
	v_pk_fma_f16 v34, v18, s22, v33 op_sel:[0,0,1] op_sel_hi:[1,1,0]
	v_pk_fma_f16 v33, v18, s22, v33 op_sel:[0,0,1] op_sel_hi:[1,1,0] neg_lo:[1,0,0] neg_hi:[1,0,0]
	v_pk_add_f16 v32, v7, v32 op_sel:[1,0] op_sel_hi:[0,1]
	v_bfi_b32 v35, s16, v34, v33
	s_mov_b32 s22, 0x2fb7bbc4
	v_pk_add_f16 v32, v35, v32
	s_mov_b32 s20, 0xb3a8bbf1
	v_pk_mul_f16 v35, v15, s22
	v_pk_fma_f16 v36, v17, s20, v35 op_sel:[0,0,1] op_sel_hi:[1,1,0]
	v_pk_fma_f16 v35, v17, s20, v35 op_sel:[0,0,1] op_sel_hi:[1,1,0] neg_lo:[1,0,0] neg_hi:[1,0,0]
	v_bfi_b32 v37, s16, v36, v35
	s_mov_b32 s22, 0xb5acb9fd
	v_pk_add_f16 v32, v37, v32
	s_mov_b32 s20, 0x394ebb7b
	v_pk_mul_f16 v37, v16, s22
	v_pk_fma_f16 v38, v14, s20, v37 op_sel:[0,0,1] op_sel_hi:[1,1,0]
	v_pk_fma_f16 v37, v14, s20, v37 op_sel:[0,0,1] op_sel_hi:[1,1,0] neg_lo:[1,0,0] neg_hi:[1,0,0]
	;; [unrolled: 7-line block ×4, first 2 shown]
	v_bfi_b32 v42, s16, v42, v43
	s_mov_b32 s22, 0xb770
	v_pk_add_f16 v32, v42, v32
	v_mul_f16_sdwa v42, v8, s22 dst_sel:DWORD dst_unused:UNUSED_PAD src0_sel:WORD_1 src1_sel:DWORD
	v_fma_f16 v44, v23, s19, -v42
	v_mul_f16_sdwa v45, v18, s9 dst_sel:DWORD dst_unused:UNUSED_PAD src0_sel:WORD_1 src1_sel:DWORD
	v_add_f16_e32 v44, v7, v44
	v_fma_f16 v46, v4, s6, -v45
	s_mov_b32 s23, 0xbbf1
	v_add_f16_e32 v44, v46, v44
	v_mul_f16_sdwa v46, v17, s23 dst_sel:DWORD dst_unused:UNUSED_PAD src0_sel:WORD_1 src1_sel:DWORD
	v_fma_f16 v47, v15, s17, -v46
	v_add_f16_e32 v44, v47, v44
	v_mul_f16_sdwa v47, v14, s8 dst_sel:DWORD dst_unused:UNUSED_PAD src0_sel:WORD_1 src1_sel:DWORD
	v_fma_f16 v48, v16, s7, -v47
	s_mov_b32 s25, 0xb94e
	v_add_f16_e32 v44, v48, v44
	v_mul_f16_sdwa v48, v13, s25 dst_sel:DWORD dst_unused:UNUSED_PAD src0_sel:WORD_1 src1_sel:DWORD
	v_fma_f16 v49, v11, s15, -v48
	v_add_f16_e32 v44, v49, v44
	v_mul_f16_sdwa v49, v9, s18 dst_sel:DWORD dst_unused:UNUSED_PAD src0_sel:WORD_1 src1_sel:DWORD
	v_fma_f16 v50, v12, s14, -v49
	v_add_f16_e32 v44, v50, v44
	v_alignbit_b32 v10, v10, v32, 16
	v_pack_b32_f16 v32, v44, v32
	v_mad_u32_u24 v44, v3, 48, v0
	ds_write2_b32 v44, v32, v10 offset0:1 offset1:2
	v_mul_f16_sdwa v10, v23, s7 dst_sel:DWORD dst_unused:UNUSED_PAD src0_sel:WORD_1 src1_sel:DWORD
	v_fma_f16 v32, v8, s8, v10
	v_mul_f16_sdwa v50, v4, s15 dst_sel:DWORD dst_unused:UNUSED_PAD src0_sel:WORD_1 src1_sel:DWORD
	v_add_f16_sdwa v32, v7, v32 dst_sel:DWORD dst_unused:UNUSED_PAD src0_sel:WORD_1 src1_sel:DWORD
	v_fma_f16 v51, v18, s27, v50
	v_add_f16_e32 v32, v51, v32
	v_mul_f16_sdwa v51, v15, s19 dst_sel:DWORD dst_unused:UNUSED_PAD src0_sel:WORD_1 src1_sel:DWORD
	v_fma_f16 v52, v17, s24, v51
	v_add_f16_e32 v32, v52, v32
	v_mul_f16_sdwa v52, v16, s17 dst_sel:DWORD dst_unused:UNUSED_PAD src0_sel:WORD_1 src1_sel:DWORD
	v_fma_f16 v53, v14, s23, v52
	v_add_f16_e32 v32, v53, v32
	s_movk_i32 s29, 0x33a8
	v_mul_f16_sdwa v53, v11, s14 dst_sel:DWORD dst_unused:UNUSED_PAD src0_sel:WORD_1 src1_sel:DWORD
	v_fma_f16 v54, v13, s29, v53
	v_add_f16_e32 v32, v54, v32
	s_movk_i32 s26, 0x3a95
	v_mul_f16_sdwa v54, v12, s6 dst_sel:DWORD dst_unused:UNUSED_PAD src0_sel:WORD_1 src1_sel:DWORD
	v_fma_f16 v55, v9, s26, v54
	v_add_f16_e32 v32, v55, v32
	v_mul_f16_sdwa v55, v8, s8 dst_sel:DWORD dst_unused:UNUSED_PAD src0_sel:WORD_1 src1_sel:DWORD
	v_fma_f16 v56, v23, s7, -v55
	v_mul_f16_sdwa v57, v18, s27 dst_sel:DWORD dst_unused:UNUSED_PAD src0_sel:WORD_1 src1_sel:DWORD
	v_add_f16_e32 v56, v7, v56
	v_fma_f16 v58, v4, s15, -v57
	v_add_f16_e32 v56, v58, v56
	v_mul_f16_sdwa v58, v17, s24 dst_sel:DWORD dst_unused:UNUSED_PAD src0_sel:WORD_1 src1_sel:DWORD
	v_fma_f16 v59, v15, s19, -v58
	v_add_f16_e32 v56, v59, v56
	v_mul_f16_sdwa v59, v14, s23 dst_sel:DWORD dst_unused:UNUSED_PAD src0_sel:WORD_1 src1_sel:DWORD
	;; [unrolled: 3-line block ×5, first 2 shown]
	v_fma_f16 v63, v8, s23, v62
	v_mul_f16_sdwa v64, v4, s14 dst_sel:DWORD dst_unused:UNUSED_PAD src0_sel:WORD_1 src1_sel:DWORD
	v_add_f16_sdwa v63, v7, v63 dst_sel:DWORD dst_unused:UNUSED_PAD src0_sel:WORD_1 src1_sel:DWORD
	v_fma_f16 v65, v18, s18, v64
	v_add_f16_e32 v63, v65, v63
	s_movk_i32 s28, 0x3b7b
	v_mul_f16_sdwa v65, v15, s7 dst_sel:DWORD dst_unused:UNUSED_PAD src0_sel:WORD_1 src1_sel:DWORD
	v_fma_f16 v66, v17, s28, v65
	v_add_f16_e32 v63, v66, v63
	v_mul_f16_sdwa v66, v16, s19 dst_sel:DWORD dst_unused:UNUSED_PAD src0_sel:WORD_1 src1_sel:DWORD
	v_fma_f16 v67, v14, s24, v66
	v_add_f16_e32 v63, v67, v63
	;; [unrolled: 3-line block ×4, first 2 shown]
	v_mul_f16_sdwa v69, v8, s23 dst_sel:DWORD dst_unused:UNUSED_PAD src0_sel:WORD_1 src1_sel:DWORD
	v_fma_f16 v70, v23, s17, -v69
	v_mul_f16_sdwa v71, v18, s18 dst_sel:DWORD dst_unused:UNUSED_PAD src0_sel:WORD_1 src1_sel:DWORD
	v_add_f16_e32 v70, v7, v70
	v_fma_f16 v72, v4, s14, -v71
	v_add_f16_e32 v70, v72, v70
	v_mul_f16_sdwa v72, v17, s28 dst_sel:DWORD dst_unused:UNUSED_PAD src0_sel:WORD_1 src1_sel:DWORD
	v_fma_f16 v73, v15, s7, -v72
	v_add_f16_e32 v70, v73, v70
	v_mul_f16_sdwa v73, v14, s24 dst_sel:DWORD dst_unused:UNUSED_PAD src0_sel:WORD_1 src1_sel:DWORD
	;; [unrolled: 3-line block ×4, first 2 shown]
	v_fma_f16 v76, v12, s15, -v75
	v_add_f16_e32 v70, v76, v70
	v_pack_b32_f16 v32, v56, v32
	v_pack_b32_f16 v56, v70, v63
	v_pk_add_f16 v21, v22, v21
	v_mul_f16_sdwa v22, v23, s15 dst_sel:DWORD dst_unused:UNUSED_PAD src0_sel:WORD_1 src1_sel:DWORD
	ds_write2_b32 v44, v56, v32 offset0:3 offset1:4
	v_fma_f16 v32, v8, s25, v22
	v_mul_f16_sdwa v56, v4, s17 dst_sel:DWORD dst_unused:UNUSED_PAD src0_sel:WORD_1 src1_sel:DWORD
	v_add_f16_sdwa v32, v7, v32 dst_sel:DWORD dst_unused:UNUSED_PAD src0_sel:WORD_1 src1_sel:DWORD
	v_fma_f16 v63, v18, s21, v56
	v_add_f16_e32 v32, v63, v32
	v_mul_f16_sdwa v63, v15, s6 dst_sel:DWORD dst_unused:UNUSED_PAD src0_sel:WORD_1 src1_sel:DWORD
	v_fma_f16 v70, v17, s9, v63
	v_add_f16_e32 v32, v70, v32
	v_mul_f16_sdwa v70, v16, s14 dst_sel:DWORD dst_unused:UNUSED_PAD src0_sel:WORD_1 src1_sel:DWORD
	;; [unrolled: 3-line block ×5, first 2 shown]
	v_fma_f16 v79, v23, s15, -v78
	v_mul_f16_sdwa v80, v18, s21 dst_sel:DWORD dst_unused:UNUSED_PAD src0_sel:WORD_1 src1_sel:DWORD
	v_add_f16_e32 v79, v7, v79
	v_fma_f16 v81, v4, s17, -v80
	v_add_f16_e32 v79, v81, v79
	v_mul_f16_sdwa v81, v17, s9 dst_sel:DWORD dst_unused:UNUSED_PAD src0_sel:WORD_1 src1_sel:DWORD
	v_fma_f16 v82, v15, s6, -v81
	v_add_f16_e32 v79, v82, v79
	v_mul_f16_sdwa v82, v14, s29 dst_sel:DWORD dst_unused:UNUSED_PAD src0_sel:WORD_1 src1_sel:DWORD
	;; [unrolled: 3-line block ×4, first 2 shown]
	v_fma_f16 v85, v12, s7, -v84
	v_add_f16_e32 v79, v85, v79
	v_pack_b32_f16 v32, v79, v32
	ds_write2_b32 v44, v21, v32 offset1:5
	v_fma_f16 v21, v8, s26, v24
	v_fma_f16 v24, v8, s21, v62
	;; [unrolled: 1-line block ×6, first 2 shown]
	v_pk_mul_f16 v23, v23, s14 op_sel_hi:[1,0]
	v_fma_f16 v10, v8, s28, v10
	v_fma_f16 v22, v8, s27, v22
	v_pk_fma_f16 v69, v8, s18, v23 op_sel:[0,0,1] op_sel_hi:[1,0,0] neg_lo:[1,0,0] neg_hi:[1,0,0]
	v_pk_fma_f16 v8, v8, s18, v23 op_sel:[0,0,1] op_sel_hi:[1,0,0]
	v_add_f16_sdwa v21, v7, v21 dst_sel:DWORD dst_unused:UNUSED_PAD src0_sel:WORD_1 src1_sel:DWORD
	v_pk_add_f16 v23, v7, v31 op_sel:[1,0] op_sel_hi:[0,1]
	v_add_f16_sdwa v24, v7, v24 dst_sel:DWORD dst_unused:UNUSED_PAD src0_sel:WORD_1 src1_sel:DWORD
	v_add_f16_e32 v31, v7, v32
	v_add_f16_sdwa v10, v7, v10 dst_sel:DWORD dst_unused:UNUSED_PAD src0_sel:WORD_1 src1_sel:DWORD
	v_add_f16_e32 v32, v7, v55
	;; [unrolled: 2-line block ×4, first 2 shown]
	v_pk_add_f16 v62, v7, v69 op_sel:[1,0] op_sel_hi:[0,1]
	v_pk_add_f16 v7, v7, v8 op_sel:[1,0] op_sel_hi:[0,1]
	v_pk_mul_f16 v8, v4, s19 op_sel_hi:[1,0]
	v_pk_fma_f16 v69, v18, s24, v8 op_sel:[0,0,1] op_sel_hi:[1,0,0] neg_lo:[1,0,0] neg_hi:[1,0,0]
	v_pk_add_f16 v62, v69, v62
	v_pk_mul_f16 v69, v15, s15 op_sel_hi:[1,0]
	v_pk_fma_f16 v78, v17, s25, v69 op_sel:[0,0,1] op_sel_hi:[1,0,0] neg_lo:[1,0,0] neg_hi:[1,0,0]
	v_pk_add_f16 v62, v78, v62
	v_pk_mul_f16 v78, v16, s6 op_sel_hi:[1,0]
	v_pk_fma_f16 v79, v14, s26, v78 op_sel:[0,0,1] op_sel_hi:[1,0,0] neg_lo:[1,0,0] neg_hi:[1,0,0]
	v_pk_fma_f16 v8, v18, s24, v8 op_sel:[0,0,1] op_sel_hi:[1,0,0]
	v_pk_add_f16 v62, v79, v62
	v_pk_mul_f16 v79, v11, s7 op_sel_hi:[1,0]
	v_pk_add_f16 v7, v8, v7
	v_pk_fma_f16 v8, v17, s25, v69 op_sel:[0,0,1] op_sel_hi:[1,0,0]
	v_pk_fma_f16 v85, v13, s8, v79 op_sel:[0,0,1] op_sel_hi:[1,0,0] neg_lo:[1,0,0] neg_hi:[1,0,0]
	v_pk_add_f16 v7, v8, v7
	v_pk_fma_f16 v8, v14, s26, v78 op_sel:[0,0,1] op_sel_hi:[1,0,0]
	v_pk_add_f16 v62, v85, v62
	v_pk_mul_f16 v85, v12, s17 op_sel_hi:[1,0]
	v_pk_add_f16 v7, v8, v7
	v_pk_fma_f16 v8, v13, s8, v79 op_sel:[0,0,1] op_sel_hi:[1,0,0]
	v_pk_fma_f16 v86, v9, s21, v85 op_sel:[0,0,1] op_sel_hi:[1,0,0] neg_lo:[1,0,0] neg_hi:[1,0,0]
	v_pk_add_f16 v7, v8, v7
	v_pk_fma_f16 v8, v9, s21, v85 op_sel:[0,0,1] op_sel_hi:[1,0,0]
	v_pk_add_f16 v62, v86, v62
	v_pk_add_f16 v7, v8, v7
	v_alignbit_b32 v8, v62, v7, 16
	v_alignbit_b32 v7, v7, v62, 16
	ds_write2_b32 v44, v7, v8 offset0:6 offset1:7
	v_fma_f16 v7, v18, s28, v25
	v_add_f16_e32 v7, v7, v21
	v_fma_f16 v8, v17, s29, v26
	v_add_f16_e32 v7, v8, v7
	;; [unrolled: 2-line block ×4, first 2 shown]
	v_fma_f16 v8, v9, s22, v29
	v_fma_f16 v21, v18, s29, v64
	v_add_f16_e32 v7, v8, v7
	v_pk_add_f16 v8, v34, v23
	v_add_f16_e32 v21, v21, v24
	v_fma_f16 v23, v17, s8, v65
	v_add_f16_e32 v21, v23, v21
	v_fma_f16 v23, v14, s22, v66
	;; [unrolled: 2-line block ×8, first 2 shown]
	v_fma_f16 v18, v18, s23, v56
	v_add_f16_e32 v10, v24, v10
	v_fma_f16 v24, v17, s22, v51
	v_add_f16_e32 v18, v18, v22
	;; [unrolled: 2-line block ×6, first 2 shown]
	v_fma_f16 v17, v13, s26, v67
	v_fma_f16 v13, v13, s22, v76
	v_add_f16_e32 v10, v24, v10
	v_fma_f16 v24, v9, s9, v54
	v_add_f16_e32 v13, v13, v14
	v_fma_f16 v14, v9, s28, v77
	v_add_f16_e32 v10, v24, v10
	v_fma_f16 v24, v4, s15, v57
	v_add_f16_e32 v13, v14, v13
	v_fma_f16 v14, v4, s17, v80
	v_fma_f16 v4, v4, s6, v45
	v_add_f16_e32 v24, v24, v32
	v_fma_f16 v25, v15, s19, v58
	v_add_f16_e32 v14, v14, v55
	;; [unrolled: 2-line block ×9, first 2 shown]
	v_fma_f16 v11, v11, s15, v48
	v_pk_add_f16 v8, v36, v8
	v_add_f16_e32 v24, v25, v24
	v_fma_f16 v25, v12, s6, v61
	v_add_f16_e32 v14, v18, v14
	v_fma_f16 v18, v12, s7, v84
	;; [unrolled: 2-line block ×3, first 2 shown]
	v_pk_add_f16 v8, v38, v8
	v_add_f16_e32 v24, v25, v24
	v_add_f16_e32 v14, v18, v14
	v_add_f16_e32 v18, v33, v30
	v_add_f16_e32 v4, v11, v4
	v_pk_mul_f16 v11, v9, s20
	v_mul_f16_e32 v9, 0xb94e, v9
	v_add_f16_e32 v18, v35, v18
	v_pack_b32_f16 v10, v24, v10
	v_pack_b32_f16 v12, v14, v13
	v_bfi_b32 v9, s16, v9, v8
	v_add_f16_e32 v18, v37, v18
	ds_write2_b32 v44, v12, v10 offset0:8 offset1:9
	v_pack_b32_f16 v10, v17, v41
	v_bfi_b32 v11, s16, v21, v11
	v_pk_add_f16 v9, v68, v9 neg_lo:[0,1] neg_hi:[0,1]
	v_pk_add_f16 v8, v40, v8
	v_add_f16_e32 v18, v39, v18
	v_pk_add_f16 v10, v10, v11
	v_bfi_b32 v8, s16, v9, v8
	v_add_f16_e32 v18, v43, v18
	v_pk_add_f16 v8, v8, v10
	v_alignbit_b32 v7, v7, v8, 16
	v_pack_b32_f16 v8, v23, v8
	v_pack_b32_f16 v4, v4, v18
	ds_write2_b32 v44, v8, v7 offset0:10 offset1:11
	ds_write_b32 v44, v4 offset:48
.LBB0_15:
	s_or_b64 exec, exec, s[4:5]
	s_movk_i32 s4, 0x4f
	v_add_u32_e32 v4, 0x9c, v3
	v_mul_lo_u16_sdwa v7, v3, s4 dst_sel:DWORD dst_unused:UNUSED_PAD src0_sel:BYTE_0 src1_sel:DWORD
	s_movk_i32 s4, 0x4ec5
	v_add_u32_e32 v18, 0x138, v3
	v_lshrrev_b16_e32 v33, 10, v7
	v_mul_u32_u24_sdwa v8, v4, s4 dst_sel:DWORD dst_unused:UNUSED_PAD src0_sel:WORD_0 src1_sel:DWORD
	v_mul_lo_u16_e32 v7, 13, v33
	v_lshrrev_b32_e32 v36, 18, v8
	v_mul_u32_u24_sdwa v11, v18, s4 dst_sel:DWORD dst_unused:UNUSED_PAD src0_sel:WORD_0 src1_sel:DWORD
	v_sub_u16_e32 v34, v3, v7
	v_mov_b32_e32 v35, 3
	v_mul_lo_u16_e32 v8, 13, v36
	v_lshrrev_b32_e32 v38, 18, v11
	v_lshlrev_b32_sdwa v7, v35, v34 dst_sel:DWORD dst_unused:UNUSED_PAD src0_sel:DWORD src1_sel:BYTE_0
	v_sub_u16_e32 v37, v4, v8
	v_mul_lo_u16_e32 v11, 13, v38
	s_load_dwordx2 s[2:3], s[2:3], 0x0
	s_waitcnt lgkmcnt(0)
	s_barrier
	v_lshlrev_b32_e32 v10, 3, v37
	global_load_dwordx2 v[7:8], v7, s[12:13]
	v_sub_u16_e32 v39, v18, v11
	global_load_dwordx2 v[12:13], v10, s[12:13]
	v_lshlrev_b32_e32 v10, 3, v39
	global_load_dwordx2 v[14:15], v10, s[12:13]
	v_add_u32_e32 v9, 0x1d4, v3
	v_mul_u32_u24_sdwa v11, v9, s4 dst_sel:DWORD dst_unused:UNUSED_PAD src0_sel:WORD_0 src1_sel:DWORD
	v_lshrrev_b32_e32 v40, 18, v11
	v_mul_lo_u16_e32 v10, 13, v40
	v_sub_u16_e32 v41, v9, v10
	v_lshlrev_b32_e32 v9, 3, v41
	global_load_dwordx2 v[16:17], v9, s[12:13]
	v_add_u32_e32 v9, 0x900, v0
	ds_read2_b32 v[21:22], v0 offset1:156
	ds_read2_b32 v[23:24], v20 offset0:96 offset1:252
	ds_read2_b32 v[25:26], v19 offset0:56 offset1:212
	ds_read_u16 v42, v0 offset:3746
	v_add_u32_e32 v11, 0xe00, v0
	v_add_u32_e32 v10, 0x1800, v0
	ds_read2_b32 v[27:28], v9 offset0:48 offset1:204
	ds_read2_b32 v[29:30], v11 offset0:40 offset1:196
	;; [unrolled: 1-line block ×3, first 2 shown]
	s_waitcnt lgkmcnt(5)
	v_lshrrev_b32_e32 v47, 16, v23
	v_lshrrev_b32_e32 v48, 16, v24
	s_waitcnt lgkmcnt(2)
	v_lshrrev_b32_e32 v52, 16, v27
	v_lshrrev_b32_e32 v53, 16, v28
	;; [unrolled: 1-line block ×3, first 2 shown]
	s_movk_i32 s5, 0x3aee
	s_mov_b32 s4, 0xbaee
	s_waitcnt lgkmcnt(0)
	v_lshrrev_b32_e32 v49, 16, v31
	v_lshrrev_b32_e32 v44, 16, v22
	;; [unrolled: 1-line block ×6, first 2 shown]
	s_waitcnt vmcnt(0)
	s_barrier
	s_movk_i32 s6, 0xa5
	s_add_u32 s7, s12, 0x1d0c
	s_addc_u32 s8, s13, 0
	v_mul_f16_sdwa v54, v7, v52 dst_sel:DWORD dst_unused:UNUSED_PAD src0_sel:WORD_1 src1_sel:DWORD
	v_mul_f16_sdwa v56, v8, v47 dst_sel:DWORD dst_unused:UNUSED_PAD src0_sel:WORD_1 src1_sel:DWORD
	;; [unrolled: 1-line block ×4, first 2 shown]
	v_fma_f16 v27, v7, v27, -v54
	v_fma_f16 v23, v8, v23, -v56
	v_mul_f16_sdwa v62, v42, v14 dst_sel:DWORD dst_unused:UNUSED_PAD src0_sel:DWORD src1_sel:WORD_1
	v_mul_f16_sdwa v63, v14, v29 dst_sel:DWORD dst_unused:UNUSED_PAD src0_sel:WORD_1 src1_sel:DWORD
	v_fma_f16 v7, v7, v52, v55
	v_fma_f16 v8, v8, v47, v57
	v_add_f16_e32 v47, v27, v23
	v_mul_f16_sdwa v58, v12, v53 dst_sel:DWORD dst_unused:UNUSED_PAD src0_sel:WORD_1 src1_sel:DWORD
	v_mul_f16_sdwa v60, v13, v48 dst_sel:DWORD dst_unused:UNUSED_PAD src0_sel:WORD_1 src1_sel:DWORD
	;; [unrolled: 1-line block ×3, first 2 shown]
	v_fma_f16 v29, v14, v29, -v62
	v_fma_f16 v14, v42, v14, v63
	v_add_f16_e32 v42, v21, v27
	v_fma_f16 v21, v47, -0.5, v21
	v_sub_f16_e32 v47, v7, v8
	v_mul_f16_sdwa v59, v12, v28 dst_sel:DWORD dst_unused:UNUSED_PAD src0_sel:WORD_1 src1_sel:DWORD
	v_fma_f16 v28, v12, v28, -v58
	v_fma_f16 v24, v13, v24, -v60
	v_fma_f16 v13, v13, v48, v61
	v_fma_f16 v48, v47, s5, v21
	;; [unrolled: 1-line block ×3, first 2 shown]
	v_add_f16_e32 v47, v43, v7
	v_add_f16_e32 v7, v7, v8
	v_fma_f16 v12, v12, v53, v59
	v_add_f16_e32 v47, v47, v8
	v_fma_f16 v7, v7, -0.5, v43
	v_sub_f16_e32 v8, v27, v23
	v_add_f16_e32 v27, v28, v24
	v_mul_f16_sdwa v64, v49, v15 dst_sel:DWORD dst_unused:UNUSED_PAD src0_sel:DWORD src1_sel:WORD_1
	v_add_f16_e32 v42, v42, v23
	v_fma_f16 v23, v8, s4, v7
	v_fma_f16 v7, v8, s5, v7
	v_add_f16_e32 v8, v22, v28
	v_fma_f16 v22, v27, -0.5, v22
	v_sub_f16_e32 v27, v12, v13
	v_mul_f16_sdwa v65, v31, v15 dst_sel:DWORD dst_unused:UNUSED_PAD src0_sel:DWORD src1_sel:WORD_1
	v_fma_f16 v31, v31, v15, -v64
	v_fma_f16 v43, v27, s5, v22
	v_fma_f16 v22, v27, s4, v22
	v_add_f16_e32 v27, v44, v12
	v_add_f16_e32 v12, v12, v13
	v_fma_f16 v15, v49, v15, v65
	v_add_f16_e32 v27, v27, v13
	v_fma_f16 v12, v12, -0.5, v44
	v_sub_f16_e32 v13, v28, v24
	v_add_f16_e32 v28, v29, v31
	v_mul_f16_sdwa v66, v50, v16 dst_sel:DWORD dst_unused:UNUSED_PAD src0_sel:DWORD src1_sel:WORD_1
	v_mul_f16_sdwa v68, v51, v17 dst_sel:DWORD dst_unused:UNUSED_PAD src0_sel:DWORD src1_sel:WORD_1
	v_add_f16_e32 v8, v8, v24
	v_fma_f16 v24, v13, s4, v12
	v_fma_f16 v12, v13, s5, v12
	v_add_f16_e32 v13, v25, v29
	v_fma_f16 v25, v28, -0.5, v25
	v_sub_f16_e32 v28, v14, v15
	v_mul_f16_sdwa v67, v30, v16 dst_sel:DWORD dst_unused:UNUSED_PAD src0_sel:DWORD src1_sel:WORD_1
	v_mul_f16_sdwa v69, v32, v17 dst_sel:DWORD dst_unused:UNUSED_PAD src0_sel:DWORD src1_sel:WORD_1
	v_fma_f16 v30, v30, v16, -v66
	v_fma_f16 v32, v32, v17, -v68
	v_fma_f16 v44, v28, s5, v25
	v_fma_f16 v25, v28, s4, v25
	v_add_f16_e32 v28, v45, v14
	v_add_f16_e32 v14, v14, v15
	v_fma_f16 v16, v50, v16, v67
	v_fma_f16 v17, v51, v17, v69
	v_add_f16_e32 v13, v13, v31
	v_add_f16_e32 v28, v28, v15
	v_fma_f16 v14, v14, -0.5, v45
	v_sub_f16_e32 v15, v29, v31
	v_add_f16_e32 v31, v30, v32
	v_fma_f16 v29, v15, s4, v14
	v_fma_f16 v14, v15, s5, v14
	v_add_f16_e32 v15, v26, v30
	v_fma_f16 v26, v31, -0.5, v26
	v_sub_f16_e32 v31, v16, v17
	v_fma_f16 v45, v31, s5, v26
	v_fma_f16 v26, v31, s4, v26
	v_add_f16_e32 v31, v46, v16
	v_add_f16_e32 v16, v16, v17
	;; [unrolled: 1-line block ×3, first 2 shown]
	v_fma_f16 v16, v16, -0.5, v46
	v_sub_f16_e32 v17, v30, v32
	v_mov_b32_e32 v46, 2
	v_add_f16_e32 v15, v15, v32
	v_fma_f16 v30, v17, s4, v16
	v_fma_f16 v16, v17, s5, v16
	v_mul_u32_u24_e32 v17, 0x9c, v33
	v_lshlrev_b32_sdwa v32, v46, v34 dst_sel:DWORD dst_unused:UNUSED_PAD src0_sel:DWORD src1_sel:BYTE_0
	v_add3_u32 v17, 0, v17, v32
	v_pack_b32_f16 v32, v42, v47
	v_pack_b32_f16 v23, v48, v23
	;; [unrolled: 1-line block ×3, first 2 shown]
	ds_write2_b32 v17, v32, v23 offset1:13
	ds_write_b32 v17, v7 offset:104
	v_mul_u32_u24_e32 v7, 0x9c, v36
	v_lshlrev_b32_e32 v17, 2, v37
	v_add3_u32 v7, 0, v7, v17
	v_pack_b32_f16 v8, v8, v27
	v_pack_b32_f16 v17, v43, v24
	ds_write2_b32 v7, v8, v17 offset1:13
	v_pack_b32_f16 v8, v22, v12
	ds_write_b32 v7, v8 offset:104
	v_mul_u32_u24_e32 v7, 0x9c, v38
	v_lshlrev_b32_e32 v8, 2, v39
	v_add3_u32 v7, 0, v7, v8
	v_pack_b32_f16 v8, v13, v28
	v_pack_b32_f16 v12, v44, v29
	ds_write2_b32 v7, v8, v12 offset1:13
	v_pack_b32_f16 v8, v25, v14
	;; [unrolled: 8-line block ×3, first 2 shown]
	ds_write_b32 v7, v8 offset:104
	v_mul_lo_u16_sdwa v7, v3, s6 dst_sel:DWORD dst_unused:UNUSED_PAD src0_sel:BYTE_0 src1_sel:DWORD
	v_sub_u16_sdwa v8, v3, v7 dst_sel:DWORD dst_unused:UNUSED_PAD src0_sel:DWORD src1_sel:BYTE_1
	v_lshrrev_b16_e32 v8, 1, v8
	v_and_b32_e32 v8, 0x7f, v8
	v_add_u16_sdwa v7, v8, v7 dst_sel:DWORD dst_unused:UNUSED_PAD src0_sel:DWORD src1_sel:BYTE_1
	v_lshrrev_b16_e32 v7, 5, v7
	v_and_b32_e32 v34, 7, v7
	v_mul_lo_u16_e32 v7, 39, v34
	v_sub_u16_e32 v36, v3, v7
	v_mul_u32_u24_sdwa v7, v36, v35 dst_sel:DWORD dst_unused:UNUSED_PAD src0_sel:BYTE_0 src1_sel:DWORD
	v_lshlrev_b32_e32 v7, 2, v7
	s_mov_b32 s6, 0xa41b
	s_waitcnt lgkmcnt(0)
	s_barrier
	global_load_dwordx3 v[12:14], v7, s[12:13] offset:104
	v_mul_u32_u24_sdwa v7, v4, s6 dst_sel:DWORD dst_unused:UNUSED_PAD src0_sel:WORD_0 src1_sel:DWORD
	v_sub_u16_sdwa v8, v4, v7 dst_sel:DWORD dst_unused:UNUSED_PAD src0_sel:DWORD src1_sel:WORD_1
	v_lshrrev_b16_e32 v8, 1, v8
	v_add_u16_sdwa v7, v8, v7 dst_sel:DWORD dst_unused:UNUSED_PAD src0_sel:DWORD src1_sel:WORD_1
	v_lshrrev_b16_e32 v35, 5, v7
	v_mul_lo_u16_e32 v7, 39, v35
	v_sub_u16_e32 v4, v4, v7
	v_mul_u32_u24_e32 v7, 3, v4
	v_lshlrev_b32_e32 v7, 2, v7
	global_load_dwordx3 v[15:17], v7, s[12:13] offset:104
	v_mul_u32_u24_sdwa v7, v18, s6 dst_sel:DWORD dst_unused:UNUSED_PAD src0_sel:WORD_0 src1_sel:DWORD
	v_sub_u16_sdwa v8, v18, v7 dst_sel:DWORD dst_unused:UNUSED_PAD src0_sel:DWORD src1_sel:WORD_1
	v_lshrrev_b16_e32 v8, 1, v8
	v_add_u16_sdwa v7, v8, v7 dst_sel:DWORD dst_unused:UNUSED_PAD src0_sel:DWORD src1_sel:WORD_1
	v_lshrrev_b16_e32 v37, 5, v7
	v_mul_lo_u16_e32 v7, 39, v37
	v_sub_u16_e32 v18, v18, v7
	v_mul_u32_u24_e32 v7, 3, v18
	v_lshlrev_b32_e32 v7, 2, v7
	global_load_dwordx3 v[21:23], v7, s[12:13] offset:104
	ds_read2_b32 v[7:8], v0 offset1:156
	ds_read2_b32 v[24:25], v10 offset0:24 offset1:180
	ds_read2_b32 v[26:27], v9 offset0:48 offset1:204
	;; [unrolled: 1-line block ×5, first 2 shown]
	s_waitcnt lgkmcnt(4)
	v_lshrrev_b32_e32 v38, 16, v24
	s_waitcnt lgkmcnt(3)
	v_lshrrev_b32_e32 v39, 16, v27
	;; [unrolled: 2-line block ×4, first 2 shown]
	v_lshrrev_b32_e32 v41, 16, v25
	s_movk_i32 s6, 0x270
	v_mul_u32_u24_sdwa v34, v34, s6 dst_sel:DWORD dst_unused:UNUSED_PAD src0_sel:WORD_0 src1_sel:DWORD
	v_lshlrev_b32_sdwa v36, v46, v36 dst_sel:DWORD dst_unused:UNUSED_PAD src0_sel:DWORD src1_sel:BYTE_0
	v_add3_u32 v34, 0, v34, v36
	s_waitcnt vmcnt(0) lgkmcnt(0)
	s_barrier
	v_lshlrev_b32_e32 v4, 2, v4
	s_mov_b32 s6, 0xffff
	v_mul_f16_sdwa v43, v12, v42 dst_sel:DWORD dst_unused:UNUSED_PAD src0_sel:WORD_1 src1_sel:DWORD
	v_fma_f16 v43, v12, v31, -v43
	v_mul_f16_sdwa v31, v12, v31 dst_sel:DWORD dst_unused:UNUSED_PAD src0_sel:WORD_1 src1_sel:DWORD
	v_fma_f16 v12, v12, v42, v31
	v_lshrrev_b32_e32 v31, 16, v32
	v_mul_f16_sdwa v42, v13, v31 dst_sel:DWORD dst_unused:UNUSED_PAD src0_sel:WORD_1 src1_sel:DWORD
	v_fma_f16 v42, v13, v32, -v42
	v_mul_f16_sdwa v32, v13, v32 dst_sel:DWORD dst_unused:UNUSED_PAD src0_sel:WORD_1 src1_sel:DWORD
	v_fma_f16 v13, v13, v31, v32
	v_lshrrev_b32_e32 v31, 16, v29
	;; [unrolled: 5-line block ×4, first 2 shown]
	v_mul_f16_sdwa v29, v16, v26 dst_sel:DWORD dst_unused:UNUSED_PAD src0_sel:WORD_1 src1_sel:DWORD
	v_fma_f16 v29, v16, v33, -v29
	v_mul_f16_sdwa v33, v16, v33 dst_sel:DWORD dst_unused:UNUSED_PAD src0_sel:WORD_1 src1_sel:DWORD
	v_fma_f16 v16, v16, v26, v33
	v_mul_f16_sdwa v26, v38, v17 dst_sel:DWORD dst_unused:UNUSED_PAD src0_sel:DWORD src1_sel:WORD_1
	v_fma_f16 v26, v24, v17, -v26
	v_mul_f16_sdwa v24, v24, v17 dst_sel:DWORD dst_unused:UNUSED_PAD src0_sel:DWORD src1_sel:WORD_1
	v_fma_f16 v17, v38, v17, v24
	v_mul_f16_sdwa v24, v39, v21 dst_sel:DWORD dst_unused:UNUSED_PAD src0_sel:DWORD src1_sel:WORD_1
	v_fma_f16 v24, v27, v21, -v24
	v_mul_f16_sdwa v27, v27, v21 dst_sel:DWORD dst_unused:UNUSED_PAD src0_sel:DWORD src1_sel:WORD_1
	;; [unrolled: 4-line block ×4, first 2 shown]
	v_fma_f16 v23, v41, v23, v25
	v_lshrrev_b32_e32 v25, 16, v7
	v_sub_f16_e32 v33, v7, v42
	v_sub_f16_e32 v13, v25, v13
	v_sub_f16_e32 v32, v43, v32
	v_sub_f16_e32 v14, v12, v14
	v_fma_f16 v7, v7, 2.0, -v33
	v_fma_f16 v25, v25, 2.0, -v13
	;; [unrolled: 1-line block ×4, first 2 shown]
	v_sub_f16_e32 v38, v7, v38
	v_sub_f16_e32 v12, v25, v12
	;; [unrolled: 1-line block ×3, first 2 shown]
	v_add_f16_e32 v32, v13, v32
	v_lshrrev_b32_e32 v39, 16, v8
	v_fma_f16 v7, v7, 2.0, -v38
	v_fma_f16 v25, v25, 2.0, -v12
	v_fma_f16 v33, v33, 2.0, -v14
	v_fma_f16 v13, v13, 2.0, -v32
	v_sub_f16_e32 v29, v8, v29
	v_sub_f16_e32 v16, v39, v16
	;; [unrolled: 1-line block ×4, first 2 shown]
	v_fma_f16 v8, v8, 2.0, -v29
	v_fma_f16 v39, v39, 2.0, -v16
	;; [unrolled: 1-line block ×4, first 2 shown]
	v_pack_b32_f16 v7, v7, v25
	v_pack_b32_f16 v13, v33, v13
	v_sub_f16_e32 v31, v8, v31
	v_sub_f16_e32 v15, v39, v15
	;; [unrolled: 1-line block ×3, first 2 shown]
	v_add_f16_e32 v26, v16, v26
	v_lshrrev_b32_e32 v40, 16, v30
	ds_write2_b32 v34, v7, v13 offset1:39
	v_pack_b32_f16 v7, v38, v12
	v_pack_b32_f16 v12, v14, v32
	v_fma_f16 v8, v8, 2.0, -v31
	v_fma_f16 v39, v39, 2.0, -v15
	v_fma_f16 v29, v29, 2.0, -v17
	v_fma_f16 v16, v16, 2.0, -v26
	v_sub_f16_e32 v27, v30, v27
	v_sub_f16_e32 v22, v40, v22
	;; [unrolled: 1-line block ×4, first 2 shown]
	ds_write2_b32 v34, v7, v12 offset0:78 offset1:117
	v_mul_u32_u24_e32 v7, 0x270, v35
	v_fma_f16 v30, v30, 2.0, -v27
	v_fma_f16 v40, v40, 2.0, -v22
	;; [unrolled: 1-line block ×4, first 2 shown]
	v_add3_u32 v4, 0, v7, v4
	v_pack_b32_f16 v7, v8, v39
	v_pack_b32_f16 v8, v29, v16
	v_sub_f16_e32 v24, v30, v24
	v_sub_f16_e32 v21, v40, v21
	;; [unrolled: 1-line block ×3, first 2 shown]
	v_add_f16_e32 v28, v22, v28
	ds_write2_b32 v4, v7, v8 offset1:39
	v_pack_b32_f16 v7, v31, v15
	v_pack_b32_f16 v8, v17, v26
	v_fma_f16 v30, v30, 2.0, -v24
	v_fma_f16 v40, v40, 2.0, -v21
	;; [unrolled: 1-line block ×4, first 2 shown]
	ds_write2_b32 v4, v7, v8 offset0:78 offset1:117
	v_mul_u32_u24_e32 v4, 0x270, v37
	v_lshlrev_b32_e32 v7, 2, v18
	v_add3_u32 v4, 0, v4, v7
	v_pack_b32_f16 v7, v30, v40
	v_pack_b32_f16 v8, v27, v22
	ds_write2_b32 v4, v7, v8 offset1:39
	v_pack_b32_f16 v7, v24, v21
	v_pack_b32_f16 v8, v23, v28
	ds_write2_b32 v4, v7, v8 offset0:78 offset1:117
	v_mul_u32_u24_e32 v4, 5, v3
	v_lshlrev_b32_e32 v4, 2, v4
	s_waitcnt lgkmcnt(0)
	s_barrier
	global_load_dwordx4 v[12:15], v4, s[12:13] offset:572
	global_load_dword v18, v4, s[12:13] offset:588
	ds_read2_b32 v[7:8], v0 offset1:156
	ds_read2_b32 v[16:17], v19 offset0:56 offset1:212
	ds_read2_b32 v[21:22], v9 offset0:48 offset1:204
	;; [unrolled: 1-line block ×5, first 2 shown]
	s_waitcnt lgkmcnt(4)
	v_lshrrev_b32_e32 v35, 16, v16
	v_lshrrev_b32_e32 v30, 16, v17
	s_waitcnt lgkmcnt(3)
	v_lshrrev_b32_e32 v31, 16, v22
	s_waitcnt lgkmcnt(2)
	;; [unrolled: 2-line block ×4, first 2 shown]
	v_lshrrev_b32_e32 v34, 16, v28
	v_lshrrev_b32_e32 v4, 16, v7
	;; [unrolled: 1-line block ×3, first 2 shown]
	s_waitcnt vmcnt(0)
	s_barrier
	v_mul_f16_sdwa v36, v12, v35 dst_sel:DWORD dst_unused:UNUSED_PAD src0_sel:WORD_1 src1_sel:DWORD
	v_fma_f16 v36, v12, v16, -v36
	v_mul_f16_sdwa v16, v12, v16 dst_sel:DWORD dst_unused:UNUSED_PAD src0_sel:WORD_1 src1_sel:DWORD
	v_fma_f16 v16, v12, v35, v16
	v_lshrrev_b32_e32 v35, 16, v21
	v_mul_f16_sdwa v37, v13, v35 dst_sel:DWORD dst_unused:UNUSED_PAD src0_sel:WORD_1 src1_sel:DWORD
	v_fma_f16 v37, v13, v21, -v37
	v_mul_f16_sdwa v21, v13, v21 dst_sel:DWORD dst_unused:UNUSED_PAD src0_sel:WORD_1 src1_sel:DWORD
	v_fma_f16 v21, v13, v35, v21
	v_lshrrev_b32_e32 v35, 16, v23
	;; [unrolled: 5-line block ×4, first 2 shown]
	v_mul_f16_sdwa v40, v18, v35 dst_sel:DWORD dst_unused:UNUSED_PAD src0_sel:WORD_1 src1_sel:DWORD
	v_fma_f16 v40, v18, v27, -v40
	v_mul_f16_sdwa v27, v18, v27 dst_sel:DWORD dst_unused:UNUSED_PAD src0_sel:WORD_1 src1_sel:DWORD
	v_fma_f16 v27, v18, v35, v27
	v_mul_f16_sdwa v35, v30, v12 dst_sel:DWORD dst_unused:UNUSED_PAD src0_sel:DWORD src1_sel:WORD_1
	v_fma_f16 v35, v17, v12, -v35
	v_mul_f16_sdwa v17, v17, v12 dst_sel:DWORD dst_unused:UNUSED_PAD src0_sel:DWORD src1_sel:WORD_1
	v_fma_f16 v12, v30, v12, v17
	v_mul_f16_sdwa v17, v31, v13 dst_sel:DWORD dst_unused:UNUSED_PAD src0_sel:DWORD src1_sel:WORD_1
	v_fma_f16 v17, v22, v13, -v17
	v_mul_f16_sdwa v22, v22, v13 dst_sel:DWORD dst_unused:UNUSED_PAD src0_sel:DWORD src1_sel:WORD_1
	;; [unrolled: 4-line block ×4, first 2 shown]
	v_fma_f16 v15, v33, v15, v26
	v_mul_f16_sdwa v26, v34, v18 dst_sel:DWORD dst_unused:UNUSED_PAD src0_sel:DWORD src1_sel:WORD_1
	v_add_f16_e32 v32, v38, v40
	v_fma_f16 v26, v28, v18, -v26
	v_mul_f16_sdwa v28, v28, v18 dst_sel:DWORD dst_unused:UNUSED_PAD src0_sel:DWORD src1_sel:WORD_1
	v_add_f16_e32 v30, v37, v39
	v_fma_f16 v32, v32, -0.5, v36
	v_sub_f16_e32 v33, v23, v27
	v_fma_f16 v18, v34, v18, v28
	v_add_f16_e32 v28, v7, v37
	v_fma_f16 v7, v30, -0.5, v7
	v_sub_f16_e32 v30, v21, v25
	v_fma_f16 v34, v33, s5, v32
	v_fma_f16 v32, v33, s4, v32
	v_add_f16_e32 v33, v16, v23
	v_add_f16_e32 v23, v23, v27
	v_fma_f16 v31, v30, s5, v7
	v_fma_f16 v7, v30, s4, v7
	v_add_f16_e32 v30, v4, v21
	v_add_f16_e32 v21, v21, v25
	v_fma_f16 v16, v23, -0.5, v16
	v_sub_f16_e32 v23, v38, v40
	v_fma_f16 v4, v21, -0.5, v4
	v_sub_f16_e32 v21, v37, v39
	v_add_f16_e32 v33, v33, v27
	v_fma_f16 v27, v23, s4, v16
	v_add_f16_e32 v30, v30, v25
	v_fma_f16 v25, v21, s4, v4
	v_fma_f16 v4, v21, s5, v4
	v_add_f16_e32 v21, v36, v38
	v_mul_f16_e32 v36, 0x3aee, v27
	v_fma_f16 v16, v23, s5, v16
	v_fma_f16 v36, v34, 0.5, v36
	v_mul_f16_e32 v38, -0.5, v32
	v_mul_f16_e32 v34, 0xbaee, v34
	v_fma_f16 v38, v16, s5, v38
	v_fma_f16 v27, v27, 0.5, v34
	v_mul_f16_e32 v16, -0.5, v16
	v_add_f16_e32 v34, v25, v27
	v_fma_f16 v16, v32, s4, v16
	v_sub_f16_e32 v25, v25, v27
	v_add_f16_e32 v27, v17, v24
	v_add_f16_e32 v28, v28, v39
	;; [unrolled: 1-line block ×4, first 2 shown]
	v_sub_f16_e32 v4, v4, v16
	v_add_f16_e32 v16, v8, v17
	v_fma_f16 v8, v27, -0.5, v8
	v_sub_f16_e32 v27, v13, v15
	v_add_f16_e32 v23, v28, v21
	v_add_f16_e32 v37, v31, v36
	v_sub_f16_e32 v21, v28, v21
	v_sub_f16_e32 v28, v31, v36
	v_fma_f16 v31, v27, s5, v8
	v_fma_f16 v8, v27, s4, v8
	v_add_f16_e32 v27, v29, v13
	v_add_f16_e32 v16, v16, v24
	v_add_f16_e32 v27, v27, v15
	v_add_f16_e32 v13, v13, v15
	v_sub_f16_e32 v15, v17, v24
	v_add_f16_e32 v24, v22, v26
	v_fma_f16 v13, v13, -0.5, v29
	v_fma_f16 v24, v24, -0.5, v35
	v_sub_f16_e32 v29, v14, v18
	v_add_f16_e32 v40, v30, v33
	v_sub_f16_e32 v30, v30, v33
	v_fma_f16 v33, v29, s5, v24
	v_fma_f16 v24, v29, s4, v24
	v_add_f16_e32 v29, v12, v14
	v_add_f16_e32 v14, v14, v18
	v_fma_f16 v12, v14, -0.5, v12
	v_sub_f16_e32 v14, v22, v26
	v_add_f16_e32 v29, v29, v18
	v_fma_f16 v18, v14, s4, v12
	v_fma_f16 v17, v15, s4, v13
	;; [unrolled: 1-line block ×3, first 2 shown]
	v_add_f16_e32 v15, v35, v22
	v_fma_f16 v12, v14, s5, v12
	v_mul_f16_e32 v22, 0x3aee, v18
	v_mul_f16_e32 v35, -0.5, v24
	v_fma_f16 v22, v33, 0.5, v22
	v_fma_f16 v35, v12, s5, v35
	v_mul_f16_e32 v33, 0xbaee, v33
	v_mul_f16_e32 v12, -0.5, v12
	v_fma_f16 v18, v18, 0.5, v33
	v_fma_f16 v12, v24, s4, v12
	v_add_f16_e32 v39, v7, v38
	v_add_f16_e32 v33, v17, v18
	v_add_f16_e32 v24, v13, v12
	v_sub_f16_e32 v17, v17, v18
	v_sub_f16_e32 v12, v13, v12
	v_pack_b32_f16 v13, v23, v40
	v_pack_b32_f16 v18, v37, v34
	v_sub_f16_e32 v7, v7, v38
	v_add_f16_e32 v15, v15, v26
	ds_write2_b32 v0, v13, v18 offset1:156
	v_pack_b32_f16 v13, v39, v32
	v_pack_b32_f16 v18, v21, v30
	v_add_f16_e32 v14, v16, v15
	v_add_f16_e32 v26, v31, v22
	;; [unrolled: 1-line block ×3, first 2 shown]
	ds_write2_b32 v19, v13, v18 offset0:56 offset1:212
	v_pack_b32_f16 v13, v28, v25
	v_pack_b32_f16 v4, v7, v4
	v_add_f16_e32 v36, v8, v35
	v_sub_f16_e32 v15, v16, v15
	v_sub_f16_e32 v16, v31, v22
	;; [unrolled: 1-line block ×3, first 2 shown]
	ds_write2_b32 v9, v13, v4 offset0:48 offset1:204
	v_pack_b32_f16 v4, v14, v38
	v_pack_b32_f16 v7, v26, v33
	v_sub_f16_e32 v8, v8, v35
	ds_write2_b32 v11, v4, v7 offset0:40 offset1:196
	v_pack_b32_f16 v4, v36, v24
	v_pack_b32_f16 v7, v15, v22
	ds_write2_b32 v20, v4, v7 offset0:96 offset1:252
	v_pack_b32_f16 v4, v16, v17
	v_pack_b32_f16 v7, v8, v12
	ds_write2_b32 v10, v4, v7 offset0:24 offset1:180
	v_mov_b32_e32 v4, 0
	v_lshlrev_b64 v[7:8], 2, v[3:4]
	v_mov_b32_e32 v4, s13
	v_add_co_u32_e32 v12, vcc, s12, v7
	v_addc_co_u32_e32 v13, vcc, v4, v8, vcc
	s_waitcnt lgkmcnt(0)
	s_barrier
	global_load_dword v4, v[12:13], off offset:3692
	s_movk_i32 s4, 0x1000
	v_add_co_u32_e32 v12, vcc, s4, v12
	v_addc_co_u32_e32 v13, vcc, 0, v13, vcc
	global_load_dword v18, v[12:13], off offset:220
	global_load_dword v27, v[12:13], off offset:844
	;; [unrolled: 1-line block ×5, first 2 shown]
	ds_read2_b32 v[12:13], v0 offset1:156
	ds_read2_b32 v[14:15], v11 offset0:40 offset1:196
	ds_read2_b32 v[16:17], v19 offset0:56 offset1:212
	;; [unrolled: 1-line block ×5, first 2 shown]
	s_waitcnt vmcnt(0) lgkmcnt(0)
	s_barrier
	v_cmp_ne_u32_e32 vcc, 0, v3
	v_pk_mul_f16 v31, v4, v14 op_sel:[0,1]
	v_pk_fma_f16 v32, v4, v14, v31 op_sel:[0,0,1] op_sel_hi:[1,1,0] neg_lo:[0,0,1] neg_hi:[0,0,1]
	v_pk_fma_f16 v4, v4, v14, v31 op_sel:[0,0,1] op_sel_hi:[1,0,0]
	v_pk_mul_f16 v14, v18, v15 op_sel:[0,1]
	v_pk_fma_f16 v31, v18, v15, v14 op_sel:[0,0,1] op_sel_hi:[1,1,0] neg_lo:[0,0,1] neg_hi:[0,0,1]
	v_pk_fma_f16 v14, v18, v15, v14 op_sel:[0,0,1] op_sel_hi:[1,0,0]
	;; [unrolled: 3-line block ×3, first 2 shown]
	v_bfi_b32 v15, s6, v18, v15
	v_pk_mul_f16 v18, v28, v22 op_sel:[0,1]
	v_pk_fma_f16 v21, v28, v22, v18 op_sel:[0,0,1] op_sel_hi:[1,1,0] neg_lo:[0,0,1] neg_hi:[0,0,1]
	v_pk_fma_f16 v18, v28, v22, v18 op_sel:[0,0,1] op_sel_hi:[1,0,0]
	v_bfi_b32 v18, s6, v21, v18
	v_pk_mul_f16 v21, v29, v25 op_sel:[0,1]
	v_pk_fma_f16 v22, v29, v25, v21 op_sel:[0,0,1] op_sel_hi:[1,1,0] neg_lo:[0,0,1] neg_hi:[0,0,1]
	v_pk_fma_f16 v21, v29, v25, v21 op_sel:[0,0,1] op_sel_hi:[1,0,0]
	v_bfi_b32 v21, s6, v22, v21
	v_pk_add_f16 v21, v23, v21 neg_lo:[0,1] neg_hi:[0,1]
	v_pk_fma_f16 v22, v23, 2.0, v21 op_sel_hi:[1,0,1] neg_lo:[0,0,1] neg_hi:[0,0,1]
	v_pk_mul_f16 v23, v26, v30 op_sel:[0,1]
	v_bfi_b32 v4, s6, v32, v4
	v_bfi_b32 v14, s6, v31, v14
	v_pk_fma_f16 v25, v26, v30, v23 op_sel:[0,0,1] op_sel_hi:[1,1,0] neg_lo:[0,0,1] neg_hi:[0,0,1]
	v_pk_fma_f16 v23, v26, v30, v23 op_sel:[0,0,1] op_sel_hi:[1,0,0]
	v_pk_add_f16 v4, v12, v4 neg_lo:[0,1] neg_hi:[0,1]
	v_pk_add_f16 v14, v13, v14 neg_lo:[0,1] neg_hi:[0,1]
	v_bfi_b32 v23, s6, v25, v23
	v_pk_fma_f16 v12, v12, 2.0, v4 op_sel_hi:[1,0,1] neg_lo:[0,0,1] neg_hi:[0,0,1]
	v_pk_fma_f16 v13, v13, 2.0, v14 op_sel_hi:[1,0,1] neg_lo:[0,0,1] neg_hi:[0,0,1]
	v_pk_add_f16 v15, v16, v15 neg_lo:[0,1] neg_hi:[0,1]
	v_pk_add_f16 v18, v17, v18 neg_lo:[0,1] neg_hi:[0,1]
	;; [unrolled: 1-line block ×3, first 2 shown]
	v_pk_fma_f16 v16, v16, 2.0, v15 op_sel_hi:[1,0,1] neg_lo:[0,0,1] neg_hi:[0,0,1]
	v_pk_fma_f16 v17, v17, 2.0, v18 op_sel_hi:[1,0,1] neg_lo:[0,0,1] neg_hi:[0,0,1]
	;; [unrolled: 1-line block ×3, first 2 shown]
	ds_write2_b32 v0, v12, v13 offset1:156
	ds_write2_b32 v11, v4, v14 offset0:40 offset1:196
	ds_write2_b32 v19, v16, v17 offset0:56 offset1:212
	;; [unrolled: 1-line block ×5, first 2 shown]
	s_waitcnt lgkmcnt(0)
	s_barrier
	ds_read_b32 v12, v0
	v_lshlrev_b32_e32 v4, 2, v3
	v_sub_u32_e32 v4, 0, v4
                                        ; implicit-def: $vgpr11
                                        ; implicit-def: $vgpr9
                                        ; implicit-def: $vgpr10
	s_and_saveexec_b64 s[4:5], vcc
	s_xor_b64 s[4:5], exec, s[4:5]
	s_cbranch_execz .LBB0_17
; %bb.16:
	v_mov_b32_e32 v10, s8
	v_add_co_u32_e32 v9, vcc, s7, v7
	v_addc_co_u32_e32 v10, vcc, v10, v8, vcc
	global_load_dword v9, v[9:10], off
	ds_read_b32 v10, v4 offset:7488
	s_waitcnt lgkmcnt(0)
	v_pk_add_f16 v11, v12, v10 neg_lo:[0,1] neg_hi:[0,1]
	v_pk_add_f16 v10, v10, v12
	v_bfi_b32 v12, s6, v11, v10
	v_bfi_b32 v10, s6, v10, v11
	v_pk_mul_f16 v11, v12, 0.5 op_sel_hi:[1,0]
	v_pk_mul_f16 v12, v10, 0.5 op_sel_hi:[1,0]
	s_waitcnt vmcnt(0)
	v_pk_mul_f16 v13, v9, v11 op_sel:[1,0]
	v_pk_mul_f16 v14, v9, v11 op_sel_hi:[0,1]
	v_pk_fma_f16 v9, v10, 0.5, v13 op_sel_hi:[1,0,1]
	v_sub_f16_e32 v10, v12, v13
	v_sub_f16_sdwa v12, v13, v12 dst_sel:DWORD dst_unused:UNUSED_PAD src0_sel:WORD_1 src1_sel:WORD_1
	v_pk_add_f16 v11, v9, v14 op_sel:[0,1] op_sel_hi:[1,0]
	v_pk_add_f16 v13, v9, v14 op_sel:[0,1] op_sel_hi:[1,0] neg_lo:[0,1] neg_hi:[0,1]
	v_sub_f16_sdwa v9, v10, v14 dst_sel:DWORD dst_unused:UNUSED_PAD src0_sel:DWORD src1_sel:WORD_1
	v_bfi_b32 v11, s6, v11, v13
	v_sub_f16_e32 v10, v12, v14
                                        ; implicit-def: $vgpr12
.LBB0_17:
	s_andn2_saveexec_b64 s[4:5], s[4:5]
	s_cbranch_execz .LBB0_19
; %bb.18:
	v_mov_b32_e32 v10, 0
	ds_read_u16 v11, v10 offset:3746
	s_waitcnt lgkmcnt(1)
	v_alignbit_b32 v13, s0, v12, 16
	v_sub_f16_sdwa v9, v12, v12 dst_sel:DWORD dst_unused:UNUSED_PAD src0_sel:DWORD src1_sel:WORD_1
	v_pk_add_f16 v12, v13, v12
	s_waitcnt lgkmcnt(0)
	v_xor_b32_e32 v11, 0x8000, v11
	ds_write_b16 v10, v11 offset:3746
	v_pack_b32_f16 v11, v12, 0
.LBB0_19:
	s_or_b64 exec, exec, s[4:5]
	s_waitcnt lgkmcnt(0)
	v_mov_b32_e32 v12, s8
	v_add_co_u32_e32 v7, vcc, s7, v7
	v_addc_co_u32_e32 v8, vcc, v12, v8, vcc
	global_load_dword v12, v[7:8], off offset:624
	global_load_dword v13, v[7:8], off offset:1248
	;; [unrolled: 1-line block ×3, first 2 shown]
	ds_write_b16 v4, v10 offset:7490
	ds_write_b32 v0, v11
	ds_write_b16 v4, v9 offset:7488
	ds_read_b32 v9, v0 offset:624
	ds_read_b32 v10, v4 offset:6864
	global_load_dword v11, v[7:8], off offset:2496
	global_load_dword v15, v[7:8], off offset:3120
	s_mov_b32 s4, 0xffff
	s_waitcnt lgkmcnt(0)
	v_pk_add_f16 v7, v9, v10 neg_lo:[0,1] neg_hi:[0,1]
	v_pk_add_f16 v8, v9, v10
	v_bfi_b32 v9, s4, v7, v8
	v_bfi_b32 v7, s4, v8, v7
	v_pk_mul_f16 v8, v9, 0.5 op_sel_hi:[1,0]
	v_pk_mul_f16 v9, v7, 0.5 op_sel_hi:[1,0]
	s_waitcnt vmcnt(4)
	v_pk_mul_f16 v10, v12, v8 op_sel:[1,0]
	v_pk_mul_f16 v8, v12, v8 op_sel_hi:[0,1]
	v_pk_fma_f16 v7, v7, 0.5, v10 op_sel_hi:[1,0,1]
	v_sub_f16_e32 v12, v9, v10
	v_sub_f16_sdwa v9, v10, v9 dst_sel:DWORD dst_unused:UNUSED_PAD src0_sel:WORD_1 src1_sel:WORD_1
	v_pk_add_f16 v10, v7, v8 op_sel:[0,1] op_sel_hi:[1,0]
	v_pk_add_f16 v7, v7, v8 op_sel:[0,1] op_sel_hi:[1,0] neg_lo:[0,1] neg_hi:[0,1]
	v_sub_f16_sdwa v12, v12, v8 dst_sel:DWORD dst_unused:UNUSED_PAD src0_sel:DWORD src1_sel:WORD_1
	v_sub_f16_e32 v8, v9, v8
	v_bfi_b32 v7, s4, v10, v7
	ds_write_b16 v4, v8 offset:6866
	ds_write_b32 v0, v7 offset:624
	ds_write_b16 v4, v12 offset:6864
	ds_read_b32 v7, v0 offset:1248
	ds_read_b32 v8, v4 offset:6240
	s_waitcnt lgkmcnt(0)
	v_pk_add_f16 v9, v7, v8 neg_lo:[0,1] neg_hi:[0,1]
	v_pk_add_f16 v7, v7, v8
	v_bfi_b32 v8, s4, v9, v7
	v_bfi_b32 v7, s4, v7, v9
	v_pk_mul_f16 v8, v8, 0.5 op_sel_hi:[1,0]
	v_pk_mul_f16 v9, v7, 0.5 op_sel_hi:[1,0]
	s_waitcnt vmcnt(3)
	v_pk_mul_f16 v10, v13, v8 op_sel:[1,0]
	v_pk_mul_f16 v8, v13, v8 op_sel_hi:[0,1]
	v_pk_fma_f16 v7, v7, 0.5, v10 op_sel_hi:[1,0,1]
	v_sub_f16_e32 v12, v9, v10
	v_sub_f16_sdwa v9, v10, v9 dst_sel:DWORD dst_unused:UNUSED_PAD src0_sel:WORD_1 src1_sel:WORD_1
	v_pk_add_f16 v10, v7, v8 op_sel:[0,1] op_sel_hi:[1,0]
	v_pk_add_f16 v7, v7, v8 op_sel:[0,1] op_sel_hi:[1,0] neg_lo:[0,1] neg_hi:[0,1]
	v_sub_f16_sdwa v12, v12, v8 dst_sel:DWORD dst_unused:UNUSED_PAD src0_sel:DWORD src1_sel:WORD_1
	v_sub_f16_e32 v8, v9, v8
	v_bfi_b32 v7, s4, v10, v7
	ds_write_b16 v4, v8 offset:6242
	ds_write_b32 v0, v7 offset:1248
	ds_write_b16 v4, v12 offset:6240
	ds_read_b32 v7, v0 offset:1872
	ds_read_b32 v8, v4 offset:5616
	s_waitcnt lgkmcnt(0)
	v_pk_add_f16 v9, v7, v8 neg_lo:[0,1] neg_hi:[0,1]
	v_pk_add_f16 v7, v7, v8
	v_bfi_b32 v8, s4, v9, v7
	v_bfi_b32 v7, s4, v7, v9
	v_pk_mul_f16 v8, v8, 0.5 op_sel_hi:[1,0]
	v_pk_mul_f16 v9, v7, 0.5 op_sel_hi:[1,0]
	s_waitcnt vmcnt(2)
	v_pk_mul_f16 v10, v14, v8 op_sel:[1,0]
	v_pk_mul_f16 v8, v14, v8 op_sel_hi:[0,1]
	v_pk_fma_f16 v7, v7, 0.5, v10 op_sel_hi:[1,0,1]
	v_sub_f16_e32 v12, v9, v10
	v_sub_f16_sdwa v9, v10, v9 dst_sel:DWORD dst_unused:UNUSED_PAD src0_sel:WORD_1 src1_sel:WORD_1
	v_pk_add_f16 v10, v7, v8 op_sel:[0,1] op_sel_hi:[1,0]
	v_pk_add_f16 v7, v7, v8 op_sel:[0,1] op_sel_hi:[1,0] neg_lo:[0,1] neg_hi:[0,1]
	v_sub_f16_sdwa v12, v12, v8 dst_sel:DWORD dst_unused:UNUSED_PAD src0_sel:DWORD src1_sel:WORD_1
	v_sub_f16_e32 v8, v9, v8
	v_bfi_b32 v7, s4, v10, v7
	ds_write_b16 v4, v8 offset:5618
	ds_write_b32 v0, v7 offset:1872
	ds_write_b16 v4, v12 offset:5616
	ds_read_b32 v7, v0 offset:2496
	ds_read_b32 v8, v4 offset:4992
	s_waitcnt lgkmcnt(0)
	v_pk_add_f16 v9, v7, v8 neg_lo:[0,1] neg_hi:[0,1]
	v_pk_add_f16 v7, v7, v8
	v_bfi_b32 v8, s4, v9, v7
	v_bfi_b32 v7, s4, v7, v9
	v_pk_mul_f16 v8, v8, 0.5 op_sel_hi:[1,0]
	v_pk_mul_f16 v7, v7, 0.5 op_sel_hi:[1,0]
	s_waitcnt vmcnt(1)
	v_pk_fma_f16 v9, v11, v8, v7 op_sel:[1,0,0]
	v_pk_mul_f16 v10, v11, v8 op_sel_hi:[0,1]
	v_pk_fma_f16 v12, v11, v8, v7 op_sel:[1,0,0] neg_lo:[1,0,0] neg_hi:[1,0,0]
	v_pk_fma_f16 v7, v11, v8, v7 op_sel:[1,0,0] neg_lo:[0,0,1] neg_hi:[0,0,1]
	v_pk_add_f16 v8, v9, v10 op_sel:[0,1] op_sel_hi:[1,0]
	v_pk_add_f16 v9, v9, v10 op_sel:[0,1] op_sel_hi:[1,0] neg_lo:[0,1] neg_hi:[0,1]
	v_pk_add_f16 v11, v12, v10 op_sel:[0,1] op_sel_hi:[1,0] neg_lo:[0,1] neg_hi:[0,1]
	;; [unrolled: 1-line block ×3, first 2 shown]
	v_bfi_b32 v8, s4, v8, v9
	v_bfi_b32 v7, s4, v11, v7
	ds_write_b32 v0, v8 offset:2496
	ds_write_b32 v4, v7 offset:4992
	ds_read_b32 v7, v0 offset:3120
	ds_read_b32 v8, v4 offset:4368
	s_waitcnt lgkmcnt(0)
	v_pk_add_f16 v9, v7, v8 neg_lo:[0,1] neg_hi:[0,1]
	v_pk_add_f16 v7, v7, v8
	v_bfi_b32 v8, s4, v9, v7
	v_bfi_b32 v7, s4, v7, v9
	v_pk_mul_f16 v8, v8, 0.5 op_sel_hi:[1,0]
	v_pk_mul_f16 v7, v7, 0.5 op_sel_hi:[1,0]
	s_waitcnt vmcnt(0)
	v_pk_fma_f16 v9, v15, v8, v7 op_sel:[1,0,0]
	v_pk_mul_f16 v10, v15, v8 op_sel_hi:[0,1]
	v_pk_fma_f16 v11, v15, v8, v7 op_sel:[1,0,0] neg_lo:[1,0,0] neg_hi:[1,0,0]
	v_pk_fma_f16 v7, v15, v8, v7 op_sel:[1,0,0] neg_lo:[0,0,1] neg_hi:[0,0,1]
	v_pk_add_f16 v8, v9, v10 op_sel:[0,1] op_sel_hi:[1,0]
	v_pk_add_f16 v9, v9, v10 op_sel:[0,1] op_sel_hi:[1,0] neg_lo:[0,1] neg_hi:[0,1]
	v_pk_add_f16 v11, v11, v10 op_sel:[0,1] op_sel_hi:[1,0] neg_lo:[0,1] neg_hi:[0,1]
	;; [unrolled: 1-line block ×3, first 2 shown]
	v_bfi_b32 v8, s4, v8, v9
	v_bfi_b32 v7, s4, v11, v7
	ds_write_b32 v0, v8 offset:3120
	ds_write_b32 v4, v7 offset:4368
	s_waitcnt lgkmcnt(0)
	s_barrier
	s_and_saveexec_b64 s[4:5], s[0:1]
	s_cbranch_execz .LBB0_22
; %bb.20:
	v_mul_lo_u32 v0, s3, v5
	v_mul_lo_u32 v4, s2, v6
	v_mad_u64_u32 v[5:6], s[0:1], s2, v5, 0
	v_lshl_add_u32 v9, v3, 2, 0
	v_lshlrev_b64 v[1:2], 2, v[1:2]
	v_add3_u32 v6, v6, v4, v0
	v_lshlrev_b64 v[5:6], 2, v[5:6]
	v_mov_b32_e32 v0, s11
	v_add_co_u32_e32 v5, vcc, s10, v5
	v_mov_b32_e32 v4, 0
	ds_read2_b32 v[7:8], v9 offset1:156
	v_addc_co_u32_e32 v0, vcc, v0, v6, vcc
	v_add_co_u32_e32 v1, vcc, v5, v1
	v_lshlrev_b64 v[5:6], 2, v[3:4]
	v_addc_co_u32_e32 v0, vcc, v0, v2, vcc
	v_add_co_u32_e32 v5, vcc, v1, v5
	v_addc_co_u32_e32 v6, vcc, v0, v6, vcc
	s_waitcnt lgkmcnt(0)
	global_store_dword v[5:6], v7, off
	v_add_u32_e32 v5, 0x9c, v3
	v_mov_b32_e32 v6, v4
	v_lshlrev_b64 v[5:6], 2, v[5:6]
	v_add_u32_e32 v2, 0x400, v9
	v_add_co_u32_e32 v5, vcc, v1, v5
	v_addc_co_u32_e32 v6, vcc, v0, v6, vcc
	global_store_dword v[5:6], v8, off
	v_add_u32_e32 v5, 0x138, v3
	v_mov_b32_e32 v6, v4
	ds_read2_b32 v[7:8], v2 offset0:56 offset1:212
	v_lshlrev_b64 v[5:6], 2, v[5:6]
	v_add_u32_e32 v2, 0x900, v9
	v_add_co_u32_e32 v5, vcc, v1, v5
	v_addc_co_u32_e32 v6, vcc, v0, v6, vcc
	s_waitcnt lgkmcnt(0)
	global_store_dword v[5:6], v7, off
	v_add_u32_e32 v5, 0x1d4, v3
	v_mov_b32_e32 v6, v4
	v_lshlrev_b64 v[5:6], 2, v[5:6]
	s_movk_i32 s0, 0x9b
	v_add_co_u32_e32 v5, vcc, v1, v5
	v_addc_co_u32_e32 v6, vcc, v0, v6, vcc
	global_store_dword v[5:6], v8, off
	v_add_u32_e32 v5, 0x270, v3
	v_mov_b32_e32 v6, v4
	ds_read2_b32 v[7:8], v2 offset0:48 offset1:204
	v_lshlrev_b64 v[5:6], 2, v[5:6]
	v_add_u32_e32 v2, 0xe00, v9
	v_add_co_u32_e32 v5, vcc, v1, v5
	v_addc_co_u32_e32 v6, vcc, v0, v6, vcc
	s_waitcnt lgkmcnt(0)
	global_store_dword v[5:6], v7, off
	v_add_u32_e32 v5, 0x30c, v3
	v_mov_b32_e32 v6, v4
	v_lshlrev_b64 v[5:6], 2, v[5:6]
	v_add_co_u32_e32 v5, vcc, v1, v5
	v_addc_co_u32_e32 v6, vcc, v0, v6, vcc
	global_store_dword v[5:6], v8, off
	v_add_u32_e32 v5, 0x3a8, v3
	v_mov_b32_e32 v6, v4
	ds_read2_b32 v[7:8], v2 offset0:40 offset1:196
	v_lshlrev_b64 v[5:6], 2, v[5:6]
	v_add_u32_e32 v2, 0x1200, v9
	v_add_co_u32_e32 v5, vcc, v1, v5
	v_addc_co_u32_e32 v6, vcc, v0, v6, vcc
	s_waitcnt lgkmcnt(0)
	global_store_dword v[5:6], v7, off
	v_add_u32_e32 v5, 0x444, v3
	v_mov_b32_e32 v6, v4
	v_lshlrev_b64 v[5:6], 2, v[5:6]
	;; [unrolled: 15-line block ×3, first 2 shown]
	v_add_co_u32_e32 v5, vcc, v1, v5
	v_addc_co_u32_e32 v6, vcc, v0, v6, vcc
	global_store_dword v[5:6], v8, off
	v_add_u32_e32 v5, 0x618, v3
	v_mov_b32_e32 v6, v4
	ds_read2_b32 v[7:8], v2 offset0:24 offset1:180
	v_lshlrev_b64 v[5:6], 2, v[5:6]
	v_add_co_u32_e32 v5, vcc, v1, v5
	v_addc_co_u32_e32 v6, vcc, v0, v6, vcc
	s_waitcnt lgkmcnt(0)
	global_store_dword v[5:6], v7, off
	v_add_u32_e32 v5, 0x6b4, v3
	v_mov_b32_e32 v6, v4
	v_lshlrev_b64 v[5:6], 2, v[5:6]
	v_add_co_u32_e32 v5, vcc, v1, v5
	v_addc_co_u32_e32 v6, vcc, v0, v6, vcc
	v_cmp_eq_u32_e32 vcc, s0, v3
	global_store_dword v[5:6], v8, off
	s_and_b64 exec, exec, vcc
	s_cbranch_execz .LBB0_22
; %bb.21:
	ds_read_b32 v3, v4 offset:7488
	v_add_co_u32_e32 v1, vcc, 0x1000, v1
	v_addc_co_u32_e32 v2, vcc, 0, v0, vcc
	s_waitcnt lgkmcnt(0)
	global_store_dword v[1:2], v3, off offset:3392
.LBB0_22:
	s_endpgm
	.section	.rodata,"a",@progbits
	.p2align	6, 0x0
	.amdhsa_kernel fft_rtc_fwd_len1872_factors_13_3_4_6_2_wgs_156_tpt_156_halfLds_half_op_CI_CI_unitstride_sbrr_R2C_dirReg
		.amdhsa_group_segment_fixed_size 0
		.amdhsa_private_segment_fixed_size 0
		.amdhsa_kernarg_size 104
		.amdhsa_user_sgpr_count 6
		.amdhsa_user_sgpr_private_segment_buffer 1
		.amdhsa_user_sgpr_dispatch_ptr 0
		.amdhsa_user_sgpr_queue_ptr 0
		.amdhsa_user_sgpr_kernarg_segment_ptr 1
		.amdhsa_user_sgpr_dispatch_id 0
		.amdhsa_user_sgpr_flat_scratch_init 0
		.amdhsa_user_sgpr_private_segment_size 0
		.amdhsa_uses_dynamic_stack 0
		.amdhsa_system_sgpr_private_segment_wavefront_offset 0
		.amdhsa_system_sgpr_workgroup_id_x 1
		.amdhsa_system_sgpr_workgroup_id_y 0
		.amdhsa_system_sgpr_workgroup_id_z 0
		.amdhsa_system_sgpr_workgroup_info 0
		.amdhsa_system_vgpr_workitem_id 0
		.amdhsa_next_free_vgpr 87
		.amdhsa_next_free_sgpr 30
		.amdhsa_reserve_vcc 1
		.amdhsa_reserve_flat_scratch 0
		.amdhsa_float_round_mode_32 0
		.amdhsa_float_round_mode_16_64 0
		.amdhsa_float_denorm_mode_32 3
		.amdhsa_float_denorm_mode_16_64 3
		.amdhsa_dx10_clamp 1
		.amdhsa_ieee_mode 1
		.amdhsa_fp16_overflow 0
		.amdhsa_exception_fp_ieee_invalid_op 0
		.amdhsa_exception_fp_denorm_src 0
		.amdhsa_exception_fp_ieee_div_zero 0
		.amdhsa_exception_fp_ieee_overflow 0
		.amdhsa_exception_fp_ieee_underflow 0
		.amdhsa_exception_fp_ieee_inexact 0
		.amdhsa_exception_int_div_zero 0
	.end_amdhsa_kernel
	.text
.Lfunc_end0:
	.size	fft_rtc_fwd_len1872_factors_13_3_4_6_2_wgs_156_tpt_156_halfLds_half_op_CI_CI_unitstride_sbrr_R2C_dirReg, .Lfunc_end0-fft_rtc_fwd_len1872_factors_13_3_4_6_2_wgs_156_tpt_156_halfLds_half_op_CI_CI_unitstride_sbrr_R2C_dirReg
                                        ; -- End function
	.section	.AMDGPU.csdata,"",@progbits
; Kernel info:
; codeLenInByte = 10208
; NumSgprs: 34
; NumVgprs: 87
; ScratchSize: 0
; MemoryBound: 0
; FloatMode: 240
; IeeeMode: 1
; LDSByteSize: 0 bytes/workgroup (compile time only)
; SGPRBlocks: 4
; VGPRBlocks: 21
; NumSGPRsForWavesPerEU: 34
; NumVGPRsForWavesPerEU: 87
; Occupancy: 2
; WaveLimiterHint : 1
; COMPUTE_PGM_RSRC2:SCRATCH_EN: 0
; COMPUTE_PGM_RSRC2:USER_SGPR: 6
; COMPUTE_PGM_RSRC2:TRAP_HANDLER: 0
; COMPUTE_PGM_RSRC2:TGID_X_EN: 1
; COMPUTE_PGM_RSRC2:TGID_Y_EN: 0
; COMPUTE_PGM_RSRC2:TGID_Z_EN: 0
; COMPUTE_PGM_RSRC2:TIDIG_COMP_CNT: 0
	.type	__hip_cuid_5ca607379e0bbe19,@object ; @__hip_cuid_5ca607379e0bbe19
	.section	.bss,"aw",@nobits
	.globl	__hip_cuid_5ca607379e0bbe19
__hip_cuid_5ca607379e0bbe19:
	.byte	0                               ; 0x0
	.size	__hip_cuid_5ca607379e0bbe19, 1

	.ident	"AMD clang version 19.0.0git (https://github.com/RadeonOpenCompute/llvm-project roc-6.4.0 25133 c7fe45cf4b819c5991fe208aaa96edf142730f1d)"
	.section	".note.GNU-stack","",@progbits
	.addrsig
	.addrsig_sym __hip_cuid_5ca607379e0bbe19
	.amdgpu_metadata
---
amdhsa.kernels:
  - .args:
      - .actual_access:  read_only
        .address_space:  global
        .offset:         0
        .size:           8
        .value_kind:     global_buffer
      - .offset:         8
        .size:           8
        .value_kind:     by_value
      - .actual_access:  read_only
        .address_space:  global
        .offset:         16
        .size:           8
        .value_kind:     global_buffer
      - .actual_access:  read_only
        .address_space:  global
        .offset:         24
        .size:           8
        .value_kind:     global_buffer
      - .actual_access:  read_only
        .address_space:  global
        .offset:         32
        .size:           8
        .value_kind:     global_buffer
      - .offset:         40
        .size:           8
        .value_kind:     by_value
      - .actual_access:  read_only
        .address_space:  global
        .offset:         48
        .size:           8
        .value_kind:     global_buffer
      - .actual_access:  read_only
        .address_space:  global
        .offset:         56
        .size:           8
        .value_kind:     global_buffer
      - .offset:         64
        .size:           4
        .value_kind:     by_value
      - .actual_access:  read_only
        .address_space:  global
        .offset:         72
        .size:           8
        .value_kind:     global_buffer
      - .actual_access:  read_only
        .address_space:  global
        .offset:         80
        .size:           8
        .value_kind:     global_buffer
      - .actual_access:  read_only
        .address_space:  global
        .offset:         88
        .size:           8
        .value_kind:     global_buffer
      - .actual_access:  write_only
        .address_space:  global
        .offset:         96
        .size:           8
        .value_kind:     global_buffer
    .group_segment_fixed_size: 0
    .kernarg_segment_align: 8
    .kernarg_segment_size: 104
    .language:       OpenCL C
    .language_version:
      - 2
      - 0
    .max_flat_workgroup_size: 156
    .name:           fft_rtc_fwd_len1872_factors_13_3_4_6_2_wgs_156_tpt_156_halfLds_half_op_CI_CI_unitstride_sbrr_R2C_dirReg
    .private_segment_fixed_size: 0
    .sgpr_count:     34
    .sgpr_spill_count: 0
    .symbol:         fft_rtc_fwd_len1872_factors_13_3_4_6_2_wgs_156_tpt_156_halfLds_half_op_CI_CI_unitstride_sbrr_R2C_dirReg.kd
    .uniform_work_group_size: 1
    .uses_dynamic_stack: false
    .vgpr_count:     87
    .vgpr_spill_count: 0
    .wavefront_size: 64
amdhsa.target:   amdgcn-amd-amdhsa--gfx906
amdhsa.version:
  - 1
  - 2
...

	.end_amdgpu_metadata
